;; amdgpu-corpus repo=zjin-lcf/HeCBench kind=compiled arch=gfx1100 opt=O3
	.text
	.amdgcn_target "amdgcn-amd-amdhsa--gfx1100"
	.amdhsa_code_object_version 6
	.section	.text._Z34scaled_masked_softmax_warp_forwardI6__halfS0_fLi0EEvPT0_PKT_PKhT1_iii,"axG",@progbits,_Z34scaled_masked_softmax_warp_forwardI6__halfS0_fLi0EEvPT0_PKT_PKhT1_iii,comdat
	.protected	_Z34scaled_masked_softmax_warp_forwardI6__halfS0_fLi0EEvPT0_PKT_PKhT1_iii ; -- Begin function _Z34scaled_masked_softmax_warp_forwardI6__halfS0_fLi0EEvPT0_PKT_PKhT1_iii
	.globl	_Z34scaled_masked_softmax_warp_forwardI6__halfS0_fLi0EEvPT0_PKT_PKhT1_iii
	.p2align	8
	.type	_Z34scaled_masked_softmax_warp_forwardI6__halfS0_fLi0EEvPT0_PKT_PKhT1_iii,@function
_Z34scaled_masked_softmax_warp_forwardI6__halfS0_fLi0EEvPT0_PKT_PKhT1_iii: ; @_Z34scaled_masked_softmax_warp_forwardI6__halfS0_fLi0EEvPT0_PKT_PKhT1_iii
; %bb.0:
	s_clause 0x2
	s_load_b32 s10, s[2:3], 0x34
	s_load_b128 s[4:7], s[2:3], 0x18
	s_load_b64 s[8:9], s[2:3], 0x28
	s_waitcnt lgkmcnt(0)
	s_lshr_b32 s10, s10, 16
	s_cmp_eq_u32 s7, 1
	s_mov_b32 s7, s13
	s_cbranch_scc1 .LBB0_2
; %bb.1:
	s_mul_i32 s7, s8, s15
	s_delay_alu instid0(SALU_CYCLE_1)
	s_add_i32 s7, s7, s13
.LBB0_2:
	s_load_b64 s[16:17], s[0:1], 0x4
	s_mul_i32 s0, s9, s15
	v_bfe_u32 v1, v0, 10, 10
	s_add_i32 s0, s0, s14
	v_and_b32_e32 v7, 0x3ff, v0
	s_mul_i32 s1, s8, s0
	s_and_b32 s0, 0xffff, s10
	s_add_i32 s1, s1, s13
	s_clause 0x1
	s_load_b128 s[8:11], s[2:3], 0x0
	s_load_b64 s[2:3], s[2:3], 0x10
	v_mad_u64_u32 v[2:3], null, s1, s0, v[1:2]
	v_bfe_u32 v0, v0, 20, 10
	s_mov_b32 s12, 0
	s_delay_alu instid0(VALU_DEP_2) | instskip(SKIP_3) | instid1(VALU_DEP_2)
	v_lshlrev_b32_e32 v3, 1, v2
	v_mul_lo_u32 v2, s6, v2
	s_waitcnt lgkmcnt(0)
	s_lshr_b32 s1, s16, 16
	v_sub_nc_u32_e32 v3, s5, v3
	s_mul_i32 s1, s1, s17
	s_delay_alu instid0(SALU_CYCLE_1) | instskip(NEXT) | instid1(VALU_DEP_2)
	v_mul_lo_u32 v4, s1, v7
	v_min_i32_e32 v5, 2, v3
	v_cmp_lt_i32_e32 vcc_lo, 0, v3
	s_delay_alu instid0(VALU_DEP_2) | instskip(NEXT) | instid1(VALU_DEP_4)
	v_max_i32_e32 v5, 1, v5
	v_mad_u32_u24 v4, v1, s17, v4
	s_delay_alu instid0(VALU_DEP_1)
	v_add_lshl_u32 v6, v4, v0, 3
	v_lshl_add_u32 v0, v2, 1, v7
                                        ; implicit-def: $vgpr2
	s_and_saveexec_b32 s5, vcc_lo
	s_cbranch_execz .LBB0_10
; %bb.3:
	v_mad_u64_u32 v[2:3], null, s7, s0, v[1:2]
	s_delay_alu instid0(VALU_DEP_2) | instskip(SKIP_3) | instid1(VALU_DEP_4)
	v_ashrrev_i32_e32 v1, 31, v0
	v_cmp_gt_i32_e64 s0, s6, v7
	v_dual_mov_b32 v8, v5 :: v_dual_mov_b32 v9, v6
	s_ashr_i32 s7, s6, 31
	v_mul_lo_u32 v2, s6, v2
	s_delay_alu instid0(VALU_DEP_1) | instskip(SKIP_1) | instid1(VALU_DEP_2)
	v_lshl_add_u32 v3, v2, 1, v7
	v_lshlrev_b64 v[1:2], 1, v[0:1]
	v_ashrrev_i32_e32 v4, 31, v3
	s_delay_alu instid0(VALU_DEP_2) | instskip(NEXT) | instid1(VALU_DEP_1)
	v_add_co_u32 v1, s1, s10, v1
	v_add_co_ci_u32_e64 v2, s1, s11, v2, s1
	v_add_co_u32 v3, s1, s2, v3
	s_delay_alu instid0(VALU_DEP_1)
	v_add_co_ci_u32_e64 v4, s1, s3, v4, s1
	s_lshl_b64 s[10:11], s[6:7], 1
	s_set_inst_prefetch_distance 0x1
	s_branch .LBB0_6
	.p2align	6
.LBB0_4:                                ;   in Loop: Header=BB0_6 Depth=1
	s_or_b32 exec_lo, exec_lo, s3
.LBB0_5:                                ;   in Loop: Header=BB0_6 Depth=1
	s_delay_alu instid0(SALU_CYCLE_1) | instskip(SKIP_2) | instid1(VALU_DEP_1)
	s_or_b32 exec_lo, exec_lo, s2
	v_add_nc_u32_e32 v8, -1, v8
	v_add_co_u32 v1, s1, v1, s10
	v_add_co_ci_u32_e64 v2, s1, s11, v2, s1
	s_delay_alu instid0(VALU_DEP_3)
	v_cmp_eq_u32_e64 s1, 0, v8
	v_add_co_u32 v3, s2, v3, s6
	ds_store_b32 v9, v10
	v_add_nc_u32_e32 v9, 4, v9
	v_add_co_ci_u32_e64 v4, s2, s7, v4, s2
	s_or_b32 s12, s1, s12
	s_delay_alu instid0(SALU_CYCLE_1)
	s_and_not1_b32 exec_lo, exec_lo, s12
	s_cbranch_execz .LBB0_9
.LBB0_6:                                ; =>This Inner Loop Header: Depth=1
	v_mov_b32_e32 v10, 0xff800000
	s_and_saveexec_b32 s2, s0
	s_cbranch_execz .LBB0_5
; %bb.7:                                ;   in Loop: Header=BB0_6 Depth=1
	global_load_u8 v10, v[3:4], off
	s_waitcnt vmcnt(0)
	v_cmp_ne_u16_e64 s1, 1, v10
	v_mov_b32_e32 v10, 0xc61c4000
	s_delay_alu instid0(VALU_DEP_2)
	s_and_saveexec_b32 s3, s1
	s_cbranch_execz .LBB0_4
; %bb.8:                                ;   in Loop: Header=BB0_6 Depth=1
	global_load_u16 v10, v[1:2], off
	s_waitcnt vmcnt(0)
	v_cvt_f32_f16_e32 v10, v10
	s_delay_alu instid0(VALU_DEP_1)
	v_mul_f32_e32 v10, s4, v10
	s_branch .LBB0_4
.LBB0_9:
	s_set_inst_prefetch_distance 0x2
	s_or_b32 exec_lo, exec_lo, s12
	ds_load_2addr_b32 v[2:3], v6 offset1:1
.LBB0_10:
	s_or_b32 exec_lo, exec_lo, s5
	s_waitcnt lgkmcnt(0)
	v_dual_sub_f32 v1, v2, v2 :: v_dual_sub_f32 v8, v3, v3
	s_mov_b32 s10, 0
	s_delay_alu instid0(VALU_DEP_1) | instskip(SKIP_1) | instid1(VALU_DEP_2)
	v_dual_mul_f32 v4, 0x3fb8aa3b, v1 :: v_dual_mul_f32 v9, 0x3fb8aa3b, v8
	v_cmp_ngt_f32_e64 s0, 0xc2ce8ed0, v1
	v_rndne_f32_e32 v10, v4
	v_fma_f32 v11, 0x3fb8aa3b, v1, -v4
	s_delay_alu instid0(VALU_DEP_4) | instskip(SKIP_1) | instid1(VALU_DEP_3)
	v_rndne_f32_e32 v12, v9
	v_fma_f32 v13, 0x3fb8aa3b, v8, -v9
	v_dual_sub_f32 v4, v4, v10 :: v_dual_fmac_f32 v11, 0x32a5705f, v1
	s_delay_alu instid0(VALU_DEP_3) | instskip(NEXT) | instid1(VALU_DEP_3)
	v_sub_f32_e32 v9, v9, v12
	v_fmac_f32_e32 v13, 0x32a5705f, v8
	v_cvt_i32_f32_e32 v10, v10
	s_delay_alu instid0(VALU_DEP_4) | instskip(SKIP_1) | instid1(VALU_DEP_4)
	v_add_f32_e32 v4, v4, v11
	v_cvt_i32_f32_e32 v11, v12
	v_add_f32_e32 v9, v9, v13
	s_delay_alu instid0(VALU_DEP_3) | instskip(NEXT) | instid1(VALU_DEP_1)
	v_exp_f32_e32 v4, v4
	v_exp_f32_e32 v9, v9
	s_waitcnt_depctr 0xfff
	v_ldexp_f32 v4, v4, v10
	v_ldexp_f32 v9, v9, v11
	s_delay_alu instid0(VALU_DEP_2) | instskip(SKIP_1) | instid1(VALU_DEP_1)
	v_cndmask_b32_e64 v4, 0, v4, s0
	v_cmp_ngt_f32_e64 s0, 0xc2ce8ed0, v8
	v_cndmask_b32_e64 v9, 0, v9, s0
	v_cmp_nlt_f32_e64 s0, 0x42b17218, v1
	s_delay_alu instid0(VALU_DEP_1) | instskip(SKIP_1) | instid1(VALU_DEP_1)
	v_cndmask_b32_e64 v4, 0x7f800000, v4, s0
	v_cmp_nlt_f32_e64 s0, 0x42b17218, v8
	v_cndmask_b32_e64 v8, 0x7f800000, v9, s0
	ds_store_2addr_b32 v6, v4, v8 offset1:1
	s_and_saveexec_b32 s0, vcc_lo
	s_cbranch_execz .LBB0_17
; %bb.11:
	v_ashrrev_i32_e32 v1, 31, v0
	v_cmp_eq_f32_e32 vcc_lo, 0xc61c4000, v2
	v_cmp_gt_i32_e64 s0, s6, v7
	s_ashr_i32 s7, s6, 31
	s_mov_b64 s[4:5], 0
	v_lshlrev_b64 v[0:1], 1, v[0:1]
	v_cndmask_b32_e64 v2, 1.0, 0, vcc_lo
	v_cmp_eq_f32_e32 vcc_lo, 0xc61c4000, v3
	s_lshl_b64 s[2:3], s[6:7], 1
	v_cndmask_b32_e64 v3, 1.0, 0, vcc_lo
	s_delay_alu instid0(VALU_DEP_4)
	v_add_co_u32 v0, vcc_lo, s8, v0
	v_add_co_ci_u32_e32 v1, vcc_lo, s9, v1, vcc_lo
	s_branch .LBB0_14
.LBB0_12:                               ;   in Loop: Header=BB0_14 Depth=1
	s_or_b32 exec_lo, exec_lo, s6
	global_store_b16 v[0:1], v7, off
.LBB0_13:                               ;   in Loop: Header=BB0_14 Depth=1
	s_or_b32 exec_lo, exec_lo, s1
	s_add_u32 s4, s4, 1
	v_add_co_u32 v0, s1, v0, s2
	v_cmp_eq_u32_e32 vcc_lo, s4, v5
	v_add_co_ci_u32_e64 v1, s1, s3, v1, s1
	v_add_nc_u32_e32 v6, 4, v6
	s_addc_u32 s5, s5, 0
	s_or_b32 s10, vcc_lo, s10
	s_delay_alu instid0(SALU_CYCLE_1)
	s_and_not1_b32 exec_lo, exec_lo, s10
	s_cbranch_execz .LBB0_17
.LBB0_14:                               ; =>This Inner Loop Header: Depth=1
	s_and_saveexec_b32 s1, s0
	s_cbranch_execz .LBB0_13
; %bb.15:                               ;   in Loop: Header=BB0_14 Depth=1
	s_cmp_eq_u32 s4, 1
	s_cselect_b32 vcc_lo, -1, 0
	v_cndmask_b32_e32 v7, v2, v3, vcc_lo
	s_delay_alu instid0(VALU_DEP_1)
	v_cmp_neq_f32_e32 vcc_lo, 0, v7
	v_mov_b32_e32 v7, 0
	s_and_saveexec_b32 s6, vcc_lo
	s_cbranch_execz .LBB0_12
; %bb.16:                               ;   in Loop: Header=BB0_14 Depth=1
	ds_load_b32 v7, v6
	s_cmp_eq_u32 s4, 1
	s_cselect_b32 vcc_lo, -1, 0
	v_cndmask_b32_e32 v9, v4, v8, vcc_lo
	s_waitcnt lgkmcnt(0)
	s_delay_alu instid0(VALU_DEP_1) | instskip(NEXT) | instid1(VALU_DEP_1)
	v_div_scale_f32 v10, null, v9, v9, v7
	v_rcp_f32_e32 v11, v10
	s_waitcnt_depctr 0xfff
	v_fma_f32 v12, -v10, v11, 1.0
	s_delay_alu instid0(VALU_DEP_1) | instskip(SKIP_1) | instid1(VALU_DEP_1)
	v_fmac_f32_e32 v11, v12, v11
	v_div_scale_f32 v12, vcc_lo, v7, v9, v7
	v_mul_f32_e32 v13, v12, v11
	s_delay_alu instid0(VALU_DEP_1) | instskip(NEXT) | instid1(VALU_DEP_1)
	v_fma_f32 v14, -v10, v13, v12
	v_fmac_f32_e32 v13, v14, v11
	s_delay_alu instid0(VALU_DEP_1) | instskip(NEXT) | instid1(VALU_DEP_1)
	v_fma_f32 v10, -v10, v13, v12
	v_div_fmas_f32 v10, v10, v11, v13
	s_delay_alu instid0(VALU_DEP_1) | instskip(NEXT) | instid1(VALU_DEP_1)
	v_div_fixup_f32 v7, v10, v9, v7
	v_cvt_f16_f32_e32 v7, v7
	s_branch .LBB0_12
.LBB0_17:
	s_nop 0
	s_sendmsg sendmsg(MSG_DEALLOC_VGPRS)
	s_endpgm
	.section	.rodata,"a",@progbits
	.p2align	6, 0x0
	.amdhsa_kernel _Z34scaled_masked_softmax_warp_forwardI6__halfS0_fLi0EEvPT0_PKT_PKhT1_iii
		.amdhsa_group_segment_fixed_size 8192
		.amdhsa_private_segment_fixed_size 0
		.amdhsa_kernarg_size 296
		.amdhsa_user_sgpr_count 13
		.amdhsa_user_sgpr_dispatch_ptr 1
		.amdhsa_user_sgpr_queue_ptr 0
		.amdhsa_user_sgpr_kernarg_segment_ptr 1
		.amdhsa_user_sgpr_dispatch_id 0
		.amdhsa_user_sgpr_private_segment_size 0
		.amdhsa_wavefront_size32 1
		.amdhsa_uses_dynamic_stack 0
		.amdhsa_enable_private_segment 0
		.amdhsa_system_sgpr_workgroup_id_x 1
		.amdhsa_system_sgpr_workgroup_id_y 1
		.amdhsa_system_sgpr_workgroup_id_z 1
		.amdhsa_system_sgpr_workgroup_info 0
		.amdhsa_system_vgpr_workitem_id 2
		.amdhsa_next_free_vgpr 15
		.amdhsa_next_free_sgpr 18
		.amdhsa_reserve_vcc 1
		.amdhsa_float_round_mode_32 0
		.amdhsa_float_round_mode_16_64 0
		.amdhsa_float_denorm_mode_32 3
		.amdhsa_float_denorm_mode_16_64 3
		.amdhsa_dx10_clamp 1
		.amdhsa_ieee_mode 1
		.amdhsa_fp16_overflow 0
		.amdhsa_workgroup_processor_mode 1
		.amdhsa_memory_ordered 1
		.amdhsa_forward_progress 0
		.amdhsa_shared_vgpr_count 0
		.amdhsa_exception_fp_ieee_invalid_op 0
		.amdhsa_exception_fp_denorm_src 0
		.amdhsa_exception_fp_ieee_div_zero 0
		.amdhsa_exception_fp_ieee_overflow 0
		.amdhsa_exception_fp_ieee_underflow 0
		.amdhsa_exception_fp_ieee_inexact 0
		.amdhsa_exception_int_div_zero 0
	.end_amdhsa_kernel
	.section	.text._Z34scaled_masked_softmax_warp_forwardI6__halfS0_fLi0EEvPT0_PKT_PKhT1_iii,"axG",@progbits,_Z34scaled_masked_softmax_warp_forwardI6__halfS0_fLi0EEvPT0_PKT_PKhT1_iii,comdat
.Lfunc_end0:
	.size	_Z34scaled_masked_softmax_warp_forwardI6__halfS0_fLi0EEvPT0_PKT_PKhT1_iii, .Lfunc_end0-_Z34scaled_masked_softmax_warp_forwardI6__halfS0_fLi0EEvPT0_PKT_PKhT1_iii
                                        ; -- End function
	.section	.AMDGPU.csdata,"",@progbits
; Kernel info:
; codeLenInByte = 1144
; NumSgprs: 20
; NumVgprs: 15
; ScratchSize: 0
; MemoryBound: 0
; FloatMode: 240
; IeeeMode: 1
; LDSByteSize: 8192 bytes/workgroup (compile time only)
; SGPRBlocks: 2
; VGPRBlocks: 1
; NumSGPRsForWavesPerEU: 20
; NumVGPRsForWavesPerEU: 15
; Occupancy: 16
; WaveLimiterHint : 0
; COMPUTE_PGM_RSRC2:SCRATCH_EN: 0
; COMPUTE_PGM_RSRC2:USER_SGPR: 13
; COMPUTE_PGM_RSRC2:TRAP_HANDLER: 0
; COMPUTE_PGM_RSRC2:TGID_X_EN: 1
; COMPUTE_PGM_RSRC2:TGID_Y_EN: 1
; COMPUTE_PGM_RSRC2:TGID_Z_EN: 1
; COMPUTE_PGM_RSRC2:TIDIG_COMP_CNT: 2
	.section	.text._Z34scaled_masked_softmax_warp_forwardI6__halfS0_fLi1EEvPT0_PKT_PKhT1_iii,"axG",@progbits,_Z34scaled_masked_softmax_warp_forwardI6__halfS0_fLi1EEvPT0_PKT_PKhT1_iii,comdat
	.protected	_Z34scaled_masked_softmax_warp_forwardI6__halfS0_fLi1EEvPT0_PKT_PKhT1_iii ; -- Begin function _Z34scaled_masked_softmax_warp_forwardI6__halfS0_fLi1EEvPT0_PKT_PKhT1_iii
	.globl	_Z34scaled_masked_softmax_warp_forwardI6__halfS0_fLi1EEvPT0_PKT_PKhT1_iii
	.p2align	8
	.type	_Z34scaled_masked_softmax_warp_forwardI6__halfS0_fLi1EEvPT0_PKT_PKhT1_iii,@function
_Z34scaled_masked_softmax_warp_forwardI6__halfS0_fLi1EEvPT0_PKT_PKhT1_iii: ; @_Z34scaled_masked_softmax_warp_forwardI6__halfS0_fLi1EEvPT0_PKT_PKhT1_iii
; %bb.0:
	s_clause 0x2
	s_load_b32 s10, s[2:3], 0x34
	s_load_b128 s[4:7], s[2:3], 0x18
	s_load_b64 s[8:9], s[2:3], 0x28
	s_waitcnt lgkmcnt(0)
	s_lshr_b32 s10, s10, 16
	s_cmp_eq_u32 s7, 1
	s_mov_b32 s7, s13
	s_cbranch_scc1 .LBB1_2
; %bb.1:
	s_mul_i32 s7, s8, s15
	s_delay_alu instid0(SALU_CYCLE_1)
	s_add_i32 s7, s7, s13
.LBB1_2:
	s_load_b64 s[16:17], s[0:1], 0x4
	s_mul_i32 s0, s9, s15
	v_bfe_u32 v2, v0, 10, 10
	s_add_i32 s0, s0, s14
	v_and_b32_e32 v7, 0x3ff, v0
	s_mul_i32 s1, s8, s0
	s_and_b32 s0, 0xffff, s10
	s_add_i32 s1, s1, s13
	s_clause 0x1
	s_load_b128 s[8:11], s[2:3], 0x0
	s_load_b64 s[2:3], s[2:3], 0x10
	v_mad_u64_u32 v[3:4], null, s1, s0, v[2:3]
	v_bfe_u32 v0, v0, 20, 10
	s_mov_b32 s12, 0
	s_delay_alu instid0(VALU_DEP_2) | instskip(SKIP_3) | instid1(VALU_DEP_2)
	v_lshlrev_b32_e32 v1, 1, v3
	v_mul_lo_u32 v3, s6, v3
	s_waitcnt lgkmcnt(0)
	s_lshr_b32 s1, s16, 16
	v_sub_nc_u32_e32 v1, s5, v1
	s_mul_i32 s1, s1, s17
	s_delay_alu instid0(SALU_CYCLE_1) | instskip(NEXT) | instid1(VALU_DEP_2)
	v_mul_lo_u32 v4, s1, v7
	v_min_i32_e32 v5, 2, v1
	v_cmp_lt_i32_e32 vcc_lo, 0, v1
                                        ; implicit-def: $vgpr1
	s_delay_alu instid0(VALU_DEP_2) | instskip(NEXT) | instid1(VALU_DEP_4)
	v_max_i32_e32 v5, 1, v5
	v_mad_u32_u24 v4, v2, s17, v4
	s_delay_alu instid0(VALU_DEP_1)
	v_add_lshl_u32 v6, v4, v0, 3
	v_lshl_add_u32 v0, v3, 1, v7
	s_and_saveexec_b32 s5, vcc_lo
	s_cbranch_execz .LBB1_10
; %bb.3:
	v_mad_u64_u32 v[3:4], null, s7, s0, v[2:3]
	s_delay_alu instid0(VALU_DEP_2) | instskip(SKIP_3) | instid1(VALU_DEP_4)
	v_ashrrev_i32_e32 v1, 31, v0
	v_cmp_gt_i32_e64 s0, s6, v7
	v_dual_mov_b32 v8, v5 :: v_dual_mov_b32 v9, v6
	s_ashr_i32 s7, s6, 31
	v_mul_lo_u32 v2, s6, v3
	s_delay_alu instid0(VALU_DEP_1) | instskip(SKIP_1) | instid1(VALU_DEP_2)
	v_lshl_add_u32 v3, v2, 1, v7
	v_lshlrev_b64 v[1:2], 1, v[0:1]
	v_ashrrev_i32_e32 v4, 31, v3
	s_delay_alu instid0(VALU_DEP_2) | instskip(NEXT) | instid1(VALU_DEP_1)
	v_add_co_u32 v1, s1, s10, v1
	v_add_co_ci_u32_e64 v2, s1, s11, v2, s1
	v_add_co_u32 v3, s1, s2, v3
	s_delay_alu instid0(VALU_DEP_1)
	v_add_co_ci_u32_e64 v4, s1, s3, v4, s1
	s_lshl_b64 s[10:11], s[6:7], 1
	s_set_inst_prefetch_distance 0x1
	s_branch .LBB1_6
	.p2align	6
.LBB1_4:                                ;   in Loop: Header=BB1_6 Depth=1
	s_or_b32 exec_lo, exec_lo, s3
.LBB1_5:                                ;   in Loop: Header=BB1_6 Depth=1
	s_delay_alu instid0(SALU_CYCLE_1) | instskip(SKIP_2) | instid1(VALU_DEP_1)
	s_or_b32 exec_lo, exec_lo, s2
	v_add_nc_u32_e32 v8, -1, v8
	v_add_co_u32 v1, s1, v1, s10
	v_add_co_ci_u32_e64 v2, s1, s11, v2, s1
	s_delay_alu instid0(VALU_DEP_3)
	v_cmp_eq_u32_e64 s1, 0, v8
	v_add_co_u32 v3, s2, v3, s6
	ds_store_b32 v9, v10
	v_add_nc_u32_e32 v9, 4, v9
	v_add_co_ci_u32_e64 v4, s2, s7, v4, s2
	s_or_b32 s12, s1, s12
	s_delay_alu instid0(SALU_CYCLE_1)
	s_and_not1_b32 exec_lo, exec_lo, s12
	s_cbranch_execz .LBB1_9
.LBB1_6:                                ; =>This Inner Loop Header: Depth=1
	v_mov_b32_e32 v10, 0xff800000
	s_and_saveexec_b32 s2, s0
	s_cbranch_execz .LBB1_5
; %bb.7:                                ;   in Loop: Header=BB1_6 Depth=1
	global_load_u8 v10, v[3:4], off
	s_waitcnt vmcnt(0)
	v_cmp_ne_u16_e64 s1, 1, v10
	v_mov_b32_e32 v10, 0xc61c4000
	s_delay_alu instid0(VALU_DEP_2)
	s_and_saveexec_b32 s3, s1
	s_cbranch_execz .LBB1_4
; %bb.8:                                ;   in Loop: Header=BB1_6 Depth=1
	global_load_u16 v10, v[1:2], off
	s_waitcnt vmcnt(0)
	v_cvt_f32_f16_e32 v10, v10
	s_delay_alu instid0(VALU_DEP_1)
	v_mul_f32_e32 v10, s4, v10
	s_branch .LBB1_4
.LBB1_9:
	s_set_inst_prefetch_distance 0x2
	s_or_b32 exec_lo, exec_lo, s12
	ds_load_2addr_b32 v[1:2], v6 offset1:1
.LBB1_10:
	s_or_b32 exec_lo, exec_lo, s5
	v_mbcnt_lo_u32_b32 v3, -1, 0
	s_mov_b32 s10, 0
	s_delay_alu instid0(VALU_DEP_1) | instskip(SKIP_1) | instid1(VALU_DEP_2)
	v_and_b32_e32 v4, 30, v3
	v_xor_b32_e32 v8, 1, v3
	v_add_nc_u32_e32 v4, 2, v4
	s_delay_alu instid0(VALU_DEP_1) | instskip(NEXT) | instid1(VALU_DEP_1)
	v_cmp_lt_i32_e64 s0, v8, v4
	v_cndmask_b32_e64 v3, v3, v8, s0
	s_delay_alu instid0(VALU_DEP_1)
	v_lshlrev_b32_e32 v11, 2, v3
	s_waitcnt lgkmcnt(0)
	ds_bpermute_b32 v3, v11, v1
	ds_bpermute_b32 v8, v11, v2
	s_waitcnt lgkmcnt(1)
	v_cmp_lt_f32_e64 s0, v1, v3
	s_delay_alu instid0(VALU_DEP_1) | instskip(SKIP_2) | instid1(VALU_DEP_1)
	v_cndmask_b32_e64 v4, v1, v3, s0
	s_waitcnt lgkmcnt(0)
	v_cmp_lt_f32_e64 s0, v2, v8
	v_cndmask_b32_e64 v3, v2, v8, s0
	s_delay_alu instid0(VALU_DEP_1) | instskip(NEXT) | instid1(VALU_DEP_1)
	v_dual_sub_f32 v1, v1, v4 :: v_dual_sub_f32 v2, v2, v3
	v_mul_f32_e32 v8, 0x3fb8aa3b, v1
	v_cmp_ngt_f32_e64 s0, 0xc2ce8ed0, v1
	s_delay_alu instid0(VALU_DEP_3) | instskip(NEXT) | instid1(VALU_DEP_3)
	v_mul_f32_e32 v9, 0x3fb8aa3b, v2
	v_fma_f32 v10, 0x3fb8aa3b, v1, -v8
	v_rndne_f32_e32 v12, v8
	s_delay_alu instid0(VALU_DEP_3) | instskip(SKIP_1) | instid1(VALU_DEP_2)
	v_fma_f32 v13, 0x3fb8aa3b, v2, -v9
	v_rndne_f32_e32 v14, v9
	v_dual_fmac_f32 v10, 0x32a5705f, v1 :: v_dual_fmac_f32 v13, 0x32a5705f, v2
	s_delay_alu instid0(VALU_DEP_2) | instskip(NEXT) | instid1(VALU_DEP_1)
	v_dual_sub_f32 v9, v9, v14 :: v_dual_sub_f32 v8, v8, v12
	v_dual_add_f32 v9, v9, v13 :: v_dual_add_f32 v8, v8, v10
	v_cvt_i32_f32_e32 v10, v12
	v_cvt_i32_f32_e32 v12, v14
	s_delay_alu instid0(VALU_DEP_3) | instskip(NEXT) | instid1(VALU_DEP_3)
	v_exp_f32_e32 v9, v9
	v_exp_f32_e32 v8, v8
	s_waitcnt_depctr 0xfff
	v_ldexp_f32 v9, v9, v12
	v_ldexp_f32 v8, v8, v10
	s_delay_alu instid0(VALU_DEP_1) | instskip(SKIP_1) | instid1(VALU_DEP_1)
	v_cndmask_b32_e64 v8, 0, v8, s0
	v_cmp_ngt_f32_e64 s0, 0xc2ce8ed0, v2
	v_cndmask_b32_e64 v9, 0, v9, s0
	v_cmp_nlt_f32_e64 s0, 0x42b17218, v1
	s_delay_alu instid0(VALU_DEP_1)
	v_cndmask_b32_e64 v8, 0x7f800000, v8, s0
	v_cmp_nlt_f32_e64 s0, 0x42b17218, v2
	ds_bpermute_b32 v10, v11, v8
	v_cndmask_b32_e64 v9, 0x7f800000, v9, s0
	ds_bpermute_b32 v11, v11, v9
	ds_store_2addr_b32 v6, v8, v9 offset1:1
	s_and_saveexec_b32 s0, vcc_lo
	s_cbranch_execz .LBB1_17
; %bb.11:
	v_ashrrev_i32_e32 v1, 31, v0
	v_cmp_eq_f32_e32 vcc_lo, 0xc61c4000, v4
	s_waitcnt lgkmcnt(2)
	v_add_f32_e32 v4, v8, v10
	s_waitcnt lgkmcnt(1)
	v_add_f32_e32 v8, v9, v11
	v_cmp_gt_i32_e64 s0, s6, v7
	v_lshlrev_b64 v[0:1], 1, v[0:1]
	v_cndmask_b32_e64 v2, 1.0, 0, vcc_lo
	v_cmp_eq_f32_e32 vcc_lo, 0xc61c4000, v3
	s_ashr_i32 s7, s6, 31
	s_mov_b64 s[4:5], 0
	s_lshl_b64 s[2:3], s[6:7], 1
	v_cndmask_b32_e64 v3, 1.0, 0, vcc_lo
	v_add_co_u32 v0, vcc_lo, s8, v0
	v_add_co_ci_u32_e32 v1, vcc_lo, s9, v1, vcc_lo
	s_branch .LBB1_14
.LBB1_12:                               ;   in Loop: Header=BB1_14 Depth=1
	s_or_b32 exec_lo, exec_lo, s6
	global_store_b16 v[0:1], v7, off
.LBB1_13:                               ;   in Loop: Header=BB1_14 Depth=1
	s_or_b32 exec_lo, exec_lo, s1
	s_add_u32 s4, s4, 1
	v_add_co_u32 v0, s1, v0, s2
	v_cmp_eq_u32_e32 vcc_lo, s4, v5
	v_add_co_ci_u32_e64 v1, s1, s3, v1, s1
	v_add_nc_u32_e32 v6, 4, v6
	s_addc_u32 s5, s5, 0
	s_or_b32 s10, vcc_lo, s10
	s_delay_alu instid0(SALU_CYCLE_1)
	s_and_not1_b32 exec_lo, exec_lo, s10
	s_cbranch_execz .LBB1_17
.LBB1_14:                               ; =>This Inner Loop Header: Depth=1
	s_and_saveexec_b32 s1, s0
	s_cbranch_execz .LBB1_13
; %bb.15:                               ;   in Loop: Header=BB1_14 Depth=1
	s_cmp_eq_u32 s4, 1
	s_cselect_b32 vcc_lo, -1, 0
	v_cndmask_b32_e32 v7, v2, v3, vcc_lo
	s_delay_alu instid0(VALU_DEP_1)
	v_cmp_neq_f32_e32 vcc_lo, 0, v7
	v_mov_b32_e32 v7, 0
	s_and_saveexec_b32 s6, vcc_lo
	s_cbranch_execz .LBB1_12
; %bb.16:                               ;   in Loop: Header=BB1_14 Depth=1
	ds_load_b32 v7, v6
	s_cmp_eq_u32 s4, 1
	s_cselect_b32 vcc_lo, -1, 0
	v_cndmask_b32_e32 v9, v4, v8, vcc_lo
	s_waitcnt lgkmcnt(0)
	s_delay_alu instid0(VALU_DEP_1) | instskip(NEXT) | instid1(VALU_DEP_1)
	v_div_scale_f32 v10, null, v9, v9, v7
	v_rcp_f32_e32 v11, v10
	s_waitcnt_depctr 0xfff
	v_fma_f32 v12, -v10, v11, 1.0
	s_delay_alu instid0(VALU_DEP_1) | instskip(SKIP_1) | instid1(VALU_DEP_1)
	v_fmac_f32_e32 v11, v12, v11
	v_div_scale_f32 v12, vcc_lo, v7, v9, v7
	v_mul_f32_e32 v13, v12, v11
	s_delay_alu instid0(VALU_DEP_1) | instskip(NEXT) | instid1(VALU_DEP_1)
	v_fma_f32 v14, -v10, v13, v12
	v_fmac_f32_e32 v13, v14, v11
	s_delay_alu instid0(VALU_DEP_1) | instskip(NEXT) | instid1(VALU_DEP_1)
	v_fma_f32 v10, -v10, v13, v12
	v_div_fmas_f32 v10, v10, v11, v13
	s_delay_alu instid0(VALU_DEP_1) | instskip(NEXT) | instid1(VALU_DEP_1)
	v_div_fixup_f32 v7, v10, v9, v7
	v_cvt_f16_f32_e32 v7, v7
	s_branch .LBB1_12
.LBB1_17:
	s_nop 0
	s_sendmsg sendmsg(MSG_DEALLOC_VGPRS)
	s_endpgm
	.section	.rodata,"a",@progbits
	.p2align	6, 0x0
	.amdhsa_kernel _Z34scaled_masked_softmax_warp_forwardI6__halfS0_fLi1EEvPT0_PKT_PKhT1_iii
		.amdhsa_group_segment_fixed_size 8192
		.amdhsa_private_segment_fixed_size 0
		.amdhsa_kernarg_size 296
		.amdhsa_user_sgpr_count 13
		.amdhsa_user_sgpr_dispatch_ptr 1
		.amdhsa_user_sgpr_queue_ptr 0
		.amdhsa_user_sgpr_kernarg_segment_ptr 1
		.amdhsa_user_sgpr_dispatch_id 0
		.amdhsa_user_sgpr_private_segment_size 0
		.amdhsa_wavefront_size32 1
		.amdhsa_uses_dynamic_stack 0
		.amdhsa_enable_private_segment 0
		.amdhsa_system_sgpr_workgroup_id_x 1
		.amdhsa_system_sgpr_workgroup_id_y 1
		.amdhsa_system_sgpr_workgroup_id_z 1
		.amdhsa_system_sgpr_workgroup_info 0
		.amdhsa_system_vgpr_workitem_id 2
		.amdhsa_next_free_vgpr 15
		.amdhsa_next_free_sgpr 18
		.amdhsa_reserve_vcc 1
		.amdhsa_float_round_mode_32 0
		.amdhsa_float_round_mode_16_64 0
		.amdhsa_float_denorm_mode_32 3
		.amdhsa_float_denorm_mode_16_64 3
		.amdhsa_dx10_clamp 1
		.amdhsa_ieee_mode 1
		.amdhsa_fp16_overflow 0
		.amdhsa_workgroup_processor_mode 1
		.amdhsa_memory_ordered 1
		.amdhsa_forward_progress 0
		.amdhsa_shared_vgpr_count 0
		.amdhsa_exception_fp_ieee_invalid_op 0
		.amdhsa_exception_fp_denorm_src 0
		.amdhsa_exception_fp_ieee_div_zero 0
		.amdhsa_exception_fp_ieee_overflow 0
		.amdhsa_exception_fp_ieee_underflow 0
		.amdhsa_exception_fp_ieee_inexact 0
		.amdhsa_exception_int_div_zero 0
	.end_amdhsa_kernel
	.section	.text._Z34scaled_masked_softmax_warp_forwardI6__halfS0_fLi1EEvPT0_PKT_PKhT1_iii,"axG",@progbits,_Z34scaled_masked_softmax_warp_forwardI6__halfS0_fLi1EEvPT0_PKT_PKhT1_iii,comdat
.Lfunc_end1:
	.size	_Z34scaled_masked_softmax_warp_forwardI6__halfS0_fLi1EEvPT0_PKT_PKhT1_iii, .Lfunc_end1-_Z34scaled_masked_softmax_warp_forwardI6__halfS0_fLi1EEvPT0_PKT_PKhT1_iii
                                        ; -- End function
	.section	.AMDGPU.csdata,"",@progbits
; Kernel info:
; codeLenInByte = 1284
; NumSgprs: 20
; NumVgprs: 15
; ScratchSize: 0
; MemoryBound: 0
; FloatMode: 240
; IeeeMode: 1
; LDSByteSize: 8192 bytes/workgroup (compile time only)
; SGPRBlocks: 2
; VGPRBlocks: 1
; NumSGPRsForWavesPerEU: 20
; NumVGPRsForWavesPerEU: 15
; Occupancy: 16
; WaveLimiterHint : 0
; COMPUTE_PGM_RSRC2:SCRATCH_EN: 0
; COMPUTE_PGM_RSRC2:USER_SGPR: 13
; COMPUTE_PGM_RSRC2:TRAP_HANDLER: 0
; COMPUTE_PGM_RSRC2:TGID_X_EN: 1
; COMPUTE_PGM_RSRC2:TGID_Y_EN: 1
; COMPUTE_PGM_RSRC2:TGID_Z_EN: 1
; COMPUTE_PGM_RSRC2:TIDIG_COMP_CNT: 2
	.section	.text._Z34scaled_masked_softmax_warp_forwardI6__halfS0_fLi2EEvPT0_PKT_PKhT1_iii,"axG",@progbits,_Z34scaled_masked_softmax_warp_forwardI6__halfS0_fLi2EEvPT0_PKT_PKhT1_iii,comdat
	.protected	_Z34scaled_masked_softmax_warp_forwardI6__halfS0_fLi2EEvPT0_PKT_PKhT1_iii ; -- Begin function _Z34scaled_masked_softmax_warp_forwardI6__halfS0_fLi2EEvPT0_PKT_PKhT1_iii
	.globl	_Z34scaled_masked_softmax_warp_forwardI6__halfS0_fLi2EEvPT0_PKT_PKhT1_iii
	.p2align	8
	.type	_Z34scaled_masked_softmax_warp_forwardI6__halfS0_fLi2EEvPT0_PKT_PKhT1_iii,@function
_Z34scaled_masked_softmax_warp_forwardI6__halfS0_fLi2EEvPT0_PKT_PKhT1_iii: ; @_Z34scaled_masked_softmax_warp_forwardI6__halfS0_fLi2EEvPT0_PKT_PKhT1_iii
; %bb.0:
	s_clause 0x2
	s_load_b32 s10, s[2:3], 0x34
	s_load_b128 s[4:7], s[2:3], 0x18
	s_load_b64 s[8:9], s[2:3], 0x28
	s_waitcnt lgkmcnt(0)
	s_lshr_b32 s10, s10, 16
	s_cmp_eq_u32 s7, 1
	s_mov_b32 s7, s13
	s_cbranch_scc1 .LBB2_2
; %bb.1:
	s_mul_i32 s7, s8, s15
	s_delay_alu instid0(SALU_CYCLE_1)
	s_add_i32 s7, s7, s13
.LBB2_2:
	s_load_b64 s[16:17], s[0:1], 0x4
	s_mul_i32 s0, s9, s15
	v_bfe_u32 v2, v0, 10, 10
	s_add_i32 s0, s0, s14
	v_and_b32_e32 v7, 0x3ff, v0
	s_mul_i32 s1, s8, s0
	s_and_b32 s0, 0xffff, s10
	s_add_i32 s1, s1, s13
	s_clause 0x1
	s_load_b128 s[8:11], s[2:3], 0x0
	s_load_b64 s[2:3], s[2:3], 0x10
	v_mad_u64_u32 v[3:4], null, s1, s0, v[2:3]
	v_bfe_u32 v0, v0, 20, 10
	s_mov_b32 s12, 0
	s_delay_alu instid0(VALU_DEP_2) | instskip(SKIP_3) | instid1(VALU_DEP_2)
	v_lshlrev_b32_e32 v1, 1, v3
	v_mul_lo_u32 v3, s6, v3
	s_waitcnt lgkmcnt(0)
	s_lshr_b32 s1, s16, 16
	v_sub_nc_u32_e32 v1, s5, v1
	s_mul_i32 s1, s1, s17
	s_delay_alu instid0(SALU_CYCLE_1) | instskip(NEXT) | instid1(VALU_DEP_2)
	v_mul_lo_u32 v4, s1, v7
	v_min_i32_e32 v5, 2, v1
	v_cmp_lt_i32_e32 vcc_lo, 0, v1
                                        ; implicit-def: $vgpr1
	s_delay_alu instid0(VALU_DEP_2) | instskip(NEXT) | instid1(VALU_DEP_4)
	v_max_i32_e32 v5, 1, v5
	v_mad_u32_u24 v4, v2, s17, v4
	s_delay_alu instid0(VALU_DEP_1)
	v_add_lshl_u32 v6, v4, v0, 3
	v_lshl_add_u32 v0, v3, 1, v7
	s_and_saveexec_b32 s5, vcc_lo
	s_cbranch_execz .LBB2_10
; %bb.3:
	v_mad_u64_u32 v[3:4], null, s7, s0, v[2:3]
	s_delay_alu instid0(VALU_DEP_2) | instskip(SKIP_3) | instid1(VALU_DEP_4)
	v_ashrrev_i32_e32 v1, 31, v0
	v_cmp_gt_i32_e64 s0, s6, v7
	v_dual_mov_b32 v8, v5 :: v_dual_mov_b32 v9, v6
	s_ashr_i32 s7, s6, 31
	v_mul_lo_u32 v2, s6, v3
	s_delay_alu instid0(VALU_DEP_1) | instskip(SKIP_1) | instid1(VALU_DEP_2)
	v_lshl_add_u32 v3, v2, 1, v7
	v_lshlrev_b64 v[1:2], 1, v[0:1]
	v_ashrrev_i32_e32 v4, 31, v3
	s_delay_alu instid0(VALU_DEP_2) | instskip(NEXT) | instid1(VALU_DEP_1)
	v_add_co_u32 v1, s1, s10, v1
	v_add_co_ci_u32_e64 v2, s1, s11, v2, s1
	v_add_co_u32 v3, s1, s2, v3
	s_delay_alu instid0(VALU_DEP_1)
	v_add_co_ci_u32_e64 v4, s1, s3, v4, s1
	s_lshl_b64 s[10:11], s[6:7], 1
	s_set_inst_prefetch_distance 0x1
	s_branch .LBB2_6
	.p2align	6
.LBB2_4:                                ;   in Loop: Header=BB2_6 Depth=1
	s_or_b32 exec_lo, exec_lo, s3
.LBB2_5:                                ;   in Loop: Header=BB2_6 Depth=1
	s_delay_alu instid0(SALU_CYCLE_1) | instskip(SKIP_2) | instid1(VALU_DEP_1)
	s_or_b32 exec_lo, exec_lo, s2
	v_add_nc_u32_e32 v8, -1, v8
	v_add_co_u32 v1, s1, v1, s10
	v_add_co_ci_u32_e64 v2, s1, s11, v2, s1
	s_delay_alu instid0(VALU_DEP_3)
	v_cmp_eq_u32_e64 s1, 0, v8
	v_add_co_u32 v3, s2, v3, s6
	ds_store_b32 v9, v10
	v_add_nc_u32_e32 v9, 4, v9
	v_add_co_ci_u32_e64 v4, s2, s7, v4, s2
	s_or_b32 s12, s1, s12
	s_delay_alu instid0(SALU_CYCLE_1)
	s_and_not1_b32 exec_lo, exec_lo, s12
	s_cbranch_execz .LBB2_9
.LBB2_6:                                ; =>This Inner Loop Header: Depth=1
	v_mov_b32_e32 v10, 0xff800000
	s_and_saveexec_b32 s2, s0
	s_cbranch_execz .LBB2_5
; %bb.7:                                ;   in Loop: Header=BB2_6 Depth=1
	global_load_u8 v10, v[3:4], off
	s_waitcnt vmcnt(0)
	v_cmp_ne_u16_e64 s1, 1, v10
	v_mov_b32_e32 v10, 0xc61c4000
	s_delay_alu instid0(VALU_DEP_2)
	s_and_saveexec_b32 s3, s1
	s_cbranch_execz .LBB2_4
; %bb.8:                                ;   in Loop: Header=BB2_6 Depth=1
	global_load_u16 v10, v[1:2], off
	s_waitcnt vmcnt(0)
	v_cvt_f32_f16_e32 v10, v10
	s_delay_alu instid0(VALU_DEP_1)
	v_mul_f32_e32 v10, s4, v10
	s_branch .LBB2_4
.LBB2_9:
	s_set_inst_prefetch_distance 0x2
	s_or_b32 exec_lo, exec_lo, s12
	ds_load_2addr_b32 v[1:2], v6 offset1:1
.LBB2_10:
	s_or_b32 exec_lo, exec_lo, s5
	v_mbcnt_lo_u32_b32 v3, -1, 0
	s_mov_b32 s10, 0
	s_delay_alu instid0(VALU_DEP_1) | instskip(SKIP_2) | instid1(VALU_DEP_3)
	v_and_b32_e32 v4, 28, v3
	v_xor_b32_e32 v8, 2, v3
	v_xor_b32_e32 v11, 1, v3
	v_add_nc_u32_e32 v4, 4, v4
	s_delay_alu instid0(VALU_DEP_1) | instskip(NEXT) | instid1(VALU_DEP_1)
	v_cmp_lt_i32_e64 s0, v8, v4
	v_cndmask_b32_e64 v8, v3, v8, s0
	s_delay_alu instid0(VALU_DEP_4) | instskip(NEXT) | instid1(VALU_DEP_2)
	v_cmp_lt_i32_e64 s0, v11, v4
	v_lshlrev_b32_e32 v8, 2, v8
	s_delay_alu instid0(VALU_DEP_2)
	v_cndmask_b32_e64 v3, v3, v11, s0
	s_waitcnt lgkmcnt(0)
	ds_bpermute_b32 v9, v8, v1
	ds_bpermute_b32 v10, v8, v2
	v_lshlrev_b32_e32 v11, 2, v3
	s_waitcnt lgkmcnt(1)
	v_cmp_lt_f32_e64 s0, v1, v9
	s_delay_alu instid0(VALU_DEP_1)
	v_cndmask_b32_e64 v3, v1, v9, s0
	s_waitcnt lgkmcnt(0)
	v_cmp_lt_f32_e64 s0, v2, v10
	ds_bpermute_b32 v4, v11, v3
	v_cndmask_b32_e64 v9, v2, v10, s0
	ds_bpermute_b32 v10, v11, v9
	s_waitcnt lgkmcnt(1)
	v_cmp_lt_f32_e64 s0, v3, v4
	s_delay_alu instid0(VALU_DEP_1) | instskip(SKIP_2) | instid1(VALU_DEP_1)
	v_cndmask_b32_e64 v4, v3, v4, s0
	s_waitcnt lgkmcnt(0)
	v_cmp_lt_f32_e64 s0, v9, v10
	v_cndmask_b32_e64 v3, v9, v10, s0
	s_delay_alu instid0(VALU_DEP_1) | instskip(NEXT) | instid1(VALU_DEP_1)
	v_dual_sub_f32 v1, v1, v4 :: v_dual_sub_f32 v2, v2, v3
	v_mul_f32_e32 v9, 0x3fb8aa3b, v1
	v_cmp_ngt_f32_e64 s0, 0xc2ce8ed0, v1
	s_delay_alu instid0(VALU_DEP_3) | instskip(NEXT) | instid1(VALU_DEP_3)
	v_mul_f32_e32 v10, 0x3fb8aa3b, v2
	v_fma_f32 v12, 0x3fb8aa3b, v1, -v9
	v_rndne_f32_e32 v13, v9
	s_delay_alu instid0(VALU_DEP_3) | instskip(SKIP_1) | instid1(VALU_DEP_4)
	v_fma_f32 v14, 0x3fb8aa3b, v2, -v10
	v_rndne_f32_e32 v15, v10
	v_fmac_f32_e32 v12, 0x32a5705f, v1
	s_delay_alu instid0(VALU_DEP_3) | instskip(NEXT) | instid1(VALU_DEP_1)
	v_dual_sub_f32 v9, v9, v13 :: v_dual_fmac_f32 v14, 0x32a5705f, v2
	v_dual_sub_f32 v10, v10, v15 :: v_dual_add_f32 v9, v9, v12
	v_cvt_i32_f32_e32 v12, v13
	v_cvt_i32_f32_e32 v13, v15
	s_delay_alu instid0(VALU_DEP_3) | instskip(NEXT) | instid1(VALU_DEP_4)
	v_add_f32_e32 v10, v10, v14
	v_exp_f32_e32 v9, v9
	s_delay_alu instid0(VALU_DEP_1) | instskip(SKIP_3) | instid1(VALU_DEP_2)
	v_exp_f32_e32 v10, v10
	s_waitcnt_depctr 0xfff
	v_ldexp_f32 v9, v9, v12
	v_ldexp_f32 v10, v10, v13
	v_cndmask_b32_e64 v9, 0, v9, s0
	v_cmp_ngt_f32_e64 s0, 0xc2ce8ed0, v2
	s_delay_alu instid0(VALU_DEP_1) | instskip(SKIP_1) | instid1(VALU_DEP_1)
	v_cndmask_b32_e64 v10, 0, v10, s0
	v_cmp_nlt_f32_e64 s0, 0x42b17218, v1
	v_cndmask_b32_e64 v1, 0x7f800000, v9, s0
	v_cmp_nlt_f32_e64 s0, 0x42b17218, v2
	ds_bpermute_b32 v9, v8, v1
	v_cndmask_b32_e64 v2, 0x7f800000, v10, s0
	ds_bpermute_b32 v10, v8, v2
	ds_store_2addr_b32 v6, v1, v2 offset1:1
	s_waitcnt lgkmcnt(1)
	v_dual_add_f32 v8, v1, v9 :: v_dual_add_f32 v9, v2, v10
	ds_bpermute_b32 v10, v11, v8
	ds_bpermute_b32 v11, v11, v9
	s_and_saveexec_b32 s0, vcc_lo
	s_cbranch_execz .LBB2_17
; %bb.11:
	v_ashrrev_i32_e32 v1, 31, v0
	v_cmp_eq_f32_e32 vcc_lo, 0xc61c4000, v4
	s_waitcnt lgkmcnt(1)
	v_add_f32_e32 v4, v8, v10
	s_waitcnt lgkmcnt(0)
	v_add_f32_e32 v8, v9, v11
	v_cmp_gt_i32_e64 s0, s6, v7
	v_lshlrev_b64 v[0:1], 1, v[0:1]
	v_cndmask_b32_e64 v2, 1.0, 0, vcc_lo
	v_cmp_eq_f32_e32 vcc_lo, 0xc61c4000, v3
	s_ashr_i32 s7, s6, 31
	s_mov_b64 s[4:5], 0
	s_lshl_b64 s[2:3], s[6:7], 1
	v_cndmask_b32_e64 v3, 1.0, 0, vcc_lo
	v_add_co_u32 v0, vcc_lo, s8, v0
	v_add_co_ci_u32_e32 v1, vcc_lo, s9, v1, vcc_lo
	s_branch .LBB2_14
.LBB2_12:                               ;   in Loop: Header=BB2_14 Depth=1
	s_or_b32 exec_lo, exec_lo, s6
	global_store_b16 v[0:1], v7, off
.LBB2_13:                               ;   in Loop: Header=BB2_14 Depth=1
	s_or_b32 exec_lo, exec_lo, s1
	s_add_u32 s4, s4, 1
	v_add_co_u32 v0, s1, v0, s2
	v_cmp_eq_u32_e32 vcc_lo, s4, v5
	v_add_co_ci_u32_e64 v1, s1, s3, v1, s1
	v_add_nc_u32_e32 v6, 4, v6
	s_addc_u32 s5, s5, 0
	s_or_b32 s10, vcc_lo, s10
	s_delay_alu instid0(SALU_CYCLE_1)
	s_and_not1_b32 exec_lo, exec_lo, s10
	s_cbranch_execz .LBB2_17
.LBB2_14:                               ; =>This Inner Loop Header: Depth=1
	s_and_saveexec_b32 s1, s0
	s_cbranch_execz .LBB2_13
; %bb.15:                               ;   in Loop: Header=BB2_14 Depth=1
	s_cmp_eq_u32 s4, 1
	s_cselect_b32 vcc_lo, -1, 0
	v_cndmask_b32_e32 v7, v2, v3, vcc_lo
	s_delay_alu instid0(VALU_DEP_1)
	v_cmp_neq_f32_e32 vcc_lo, 0, v7
	v_mov_b32_e32 v7, 0
	s_and_saveexec_b32 s6, vcc_lo
	s_cbranch_execz .LBB2_12
; %bb.16:                               ;   in Loop: Header=BB2_14 Depth=1
	ds_load_b32 v7, v6
	s_cmp_eq_u32 s4, 1
	s_cselect_b32 vcc_lo, -1, 0
	v_cndmask_b32_e32 v9, v4, v8, vcc_lo
	s_waitcnt lgkmcnt(0)
	s_delay_alu instid0(VALU_DEP_1) | instskip(NEXT) | instid1(VALU_DEP_1)
	v_div_scale_f32 v10, null, v9, v9, v7
	v_rcp_f32_e32 v11, v10
	s_waitcnt_depctr 0xfff
	v_fma_f32 v12, -v10, v11, 1.0
	s_delay_alu instid0(VALU_DEP_1) | instskip(SKIP_1) | instid1(VALU_DEP_1)
	v_fmac_f32_e32 v11, v12, v11
	v_div_scale_f32 v12, vcc_lo, v7, v9, v7
	v_mul_f32_e32 v13, v12, v11
	s_delay_alu instid0(VALU_DEP_1) | instskip(NEXT) | instid1(VALU_DEP_1)
	v_fma_f32 v14, -v10, v13, v12
	v_fmac_f32_e32 v13, v14, v11
	s_delay_alu instid0(VALU_DEP_1) | instskip(NEXT) | instid1(VALU_DEP_1)
	v_fma_f32 v10, -v10, v13, v12
	v_div_fmas_f32 v10, v10, v11, v13
	s_delay_alu instid0(VALU_DEP_1) | instskip(NEXT) | instid1(VALU_DEP_1)
	v_div_fixup_f32 v7, v10, v9, v7
	v_cvt_f16_f32_e32 v7, v7
	s_branch .LBB2_12
.LBB2_17:
	s_nop 0
	s_sendmsg sendmsg(MSG_DEALLOC_VGPRS)
	s_endpgm
	.section	.rodata,"a",@progbits
	.p2align	6, 0x0
	.amdhsa_kernel _Z34scaled_masked_softmax_warp_forwardI6__halfS0_fLi2EEvPT0_PKT_PKhT1_iii
		.amdhsa_group_segment_fixed_size 8192
		.amdhsa_private_segment_fixed_size 0
		.amdhsa_kernarg_size 296
		.amdhsa_user_sgpr_count 13
		.amdhsa_user_sgpr_dispatch_ptr 1
		.amdhsa_user_sgpr_queue_ptr 0
		.amdhsa_user_sgpr_kernarg_segment_ptr 1
		.amdhsa_user_sgpr_dispatch_id 0
		.amdhsa_user_sgpr_private_segment_size 0
		.amdhsa_wavefront_size32 1
		.amdhsa_uses_dynamic_stack 0
		.amdhsa_enable_private_segment 0
		.amdhsa_system_sgpr_workgroup_id_x 1
		.amdhsa_system_sgpr_workgroup_id_y 1
		.amdhsa_system_sgpr_workgroup_id_z 1
		.amdhsa_system_sgpr_workgroup_info 0
		.amdhsa_system_vgpr_workitem_id 2
		.amdhsa_next_free_vgpr 16
		.amdhsa_next_free_sgpr 18
		.amdhsa_reserve_vcc 1
		.amdhsa_float_round_mode_32 0
		.amdhsa_float_round_mode_16_64 0
		.amdhsa_float_denorm_mode_32 3
		.amdhsa_float_denorm_mode_16_64 3
		.amdhsa_dx10_clamp 1
		.amdhsa_ieee_mode 1
		.amdhsa_fp16_overflow 0
		.amdhsa_workgroup_processor_mode 1
		.amdhsa_memory_ordered 1
		.amdhsa_forward_progress 0
		.amdhsa_shared_vgpr_count 0
		.amdhsa_exception_fp_ieee_invalid_op 0
		.amdhsa_exception_fp_denorm_src 0
		.amdhsa_exception_fp_ieee_div_zero 0
		.amdhsa_exception_fp_ieee_overflow 0
		.amdhsa_exception_fp_ieee_underflow 0
		.amdhsa_exception_fp_ieee_inexact 0
		.amdhsa_exception_int_div_zero 0
	.end_amdhsa_kernel
	.section	.text._Z34scaled_masked_softmax_warp_forwardI6__halfS0_fLi2EEvPT0_PKT_PKhT1_iii,"axG",@progbits,_Z34scaled_masked_softmax_warp_forwardI6__halfS0_fLi2EEvPT0_PKT_PKhT1_iii,comdat
.Lfunc_end2:
	.size	_Z34scaled_masked_softmax_warp_forwardI6__halfS0_fLi2EEvPT0_PKT_PKhT1_iii, .Lfunc_end2-_Z34scaled_masked_softmax_warp_forwardI6__halfS0_fLi2EEvPT0_PKT_PKhT1_iii
                                        ; -- End function
	.section	.AMDGPU.csdata,"",@progbits
; Kernel info:
; codeLenInByte = 1404
; NumSgprs: 20
; NumVgprs: 16
; ScratchSize: 0
; MemoryBound: 0
; FloatMode: 240
; IeeeMode: 1
; LDSByteSize: 8192 bytes/workgroup (compile time only)
; SGPRBlocks: 2
; VGPRBlocks: 1
; NumSGPRsForWavesPerEU: 20
; NumVGPRsForWavesPerEU: 16
; Occupancy: 16
; WaveLimiterHint : 0
; COMPUTE_PGM_RSRC2:SCRATCH_EN: 0
; COMPUTE_PGM_RSRC2:USER_SGPR: 13
; COMPUTE_PGM_RSRC2:TRAP_HANDLER: 0
; COMPUTE_PGM_RSRC2:TGID_X_EN: 1
; COMPUTE_PGM_RSRC2:TGID_Y_EN: 1
; COMPUTE_PGM_RSRC2:TGID_Z_EN: 1
; COMPUTE_PGM_RSRC2:TIDIG_COMP_CNT: 2
	.section	.text._Z34scaled_masked_softmax_warp_forwardI6__halfS0_fLi3EEvPT0_PKT_PKhT1_iii,"axG",@progbits,_Z34scaled_masked_softmax_warp_forwardI6__halfS0_fLi3EEvPT0_PKT_PKhT1_iii,comdat
	.protected	_Z34scaled_masked_softmax_warp_forwardI6__halfS0_fLi3EEvPT0_PKT_PKhT1_iii ; -- Begin function _Z34scaled_masked_softmax_warp_forwardI6__halfS0_fLi3EEvPT0_PKT_PKhT1_iii
	.globl	_Z34scaled_masked_softmax_warp_forwardI6__halfS0_fLi3EEvPT0_PKT_PKhT1_iii
	.p2align	8
	.type	_Z34scaled_masked_softmax_warp_forwardI6__halfS0_fLi3EEvPT0_PKT_PKhT1_iii,@function
_Z34scaled_masked_softmax_warp_forwardI6__halfS0_fLi3EEvPT0_PKT_PKhT1_iii: ; @_Z34scaled_masked_softmax_warp_forwardI6__halfS0_fLi3EEvPT0_PKT_PKhT1_iii
; %bb.0:
	s_clause 0x2
	s_load_b32 s10, s[2:3], 0x34
	s_load_b128 s[4:7], s[2:3], 0x18
	s_load_b64 s[8:9], s[2:3], 0x28
	s_waitcnt lgkmcnt(0)
	s_lshr_b32 s10, s10, 16
	s_cmp_eq_u32 s7, 1
	s_mov_b32 s7, s13
	s_cbranch_scc1 .LBB3_2
; %bb.1:
	s_mul_i32 s7, s8, s15
	s_delay_alu instid0(SALU_CYCLE_1)
	s_add_i32 s7, s7, s13
.LBB3_2:
	s_load_b64 s[16:17], s[0:1], 0x4
	s_mul_i32 s0, s9, s15
	v_bfe_u32 v2, v0, 10, 10
	s_add_i32 s0, s0, s14
	v_and_b32_e32 v7, 0x3ff, v0
	s_mul_i32 s1, s8, s0
	s_and_b32 s0, 0xffff, s10
	s_add_i32 s1, s1, s13
	s_clause 0x1
	s_load_b128 s[8:11], s[2:3], 0x0
	s_load_b64 s[2:3], s[2:3], 0x10
	v_mad_u64_u32 v[3:4], null, s1, s0, v[2:3]
	v_bfe_u32 v0, v0, 20, 10
	s_mov_b32 s12, 0
	s_delay_alu instid0(VALU_DEP_2) | instskip(SKIP_3) | instid1(VALU_DEP_2)
	v_lshlrev_b32_e32 v1, 1, v3
	v_mul_lo_u32 v3, s6, v3
	s_waitcnt lgkmcnt(0)
	s_lshr_b32 s1, s16, 16
	v_sub_nc_u32_e32 v1, s5, v1
	s_mul_i32 s1, s1, s17
	s_delay_alu instid0(SALU_CYCLE_1) | instskip(NEXT) | instid1(VALU_DEP_2)
	v_mul_lo_u32 v4, s1, v7
	v_min_i32_e32 v5, 2, v1
	v_cmp_lt_i32_e32 vcc_lo, 0, v1
                                        ; implicit-def: $vgpr1
	s_delay_alu instid0(VALU_DEP_2) | instskip(NEXT) | instid1(VALU_DEP_4)
	v_max_i32_e32 v5, 1, v5
	v_mad_u32_u24 v4, v2, s17, v4
	s_delay_alu instid0(VALU_DEP_1)
	v_add_lshl_u32 v6, v4, v0, 3
	v_lshl_add_u32 v0, v3, 1, v7
	s_and_saveexec_b32 s5, vcc_lo
	s_cbranch_execz .LBB3_10
; %bb.3:
	v_mad_u64_u32 v[3:4], null, s7, s0, v[2:3]
	s_delay_alu instid0(VALU_DEP_2) | instskip(SKIP_3) | instid1(VALU_DEP_4)
	v_ashrrev_i32_e32 v1, 31, v0
	v_cmp_gt_i32_e64 s0, s6, v7
	v_dual_mov_b32 v8, v5 :: v_dual_mov_b32 v9, v6
	s_ashr_i32 s7, s6, 31
	v_mul_lo_u32 v2, s6, v3
	s_delay_alu instid0(VALU_DEP_1) | instskip(SKIP_1) | instid1(VALU_DEP_2)
	v_lshl_add_u32 v3, v2, 1, v7
	v_lshlrev_b64 v[1:2], 1, v[0:1]
	v_ashrrev_i32_e32 v4, 31, v3
	s_delay_alu instid0(VALU_DEP_2) | instskip(NEXT) | instid1(VALU_DEP_1)
	v_add_co_u32 v1, s1, s10, v1
	v_add_co_ci_u32_e64 v2, s1, s11, v2, s1
	v_add_co_u32 v3, s1, s2, v3
	s_delay_alu instid0(VALU_DEP_1)
	v_add_co_ci_u32_e64 v4, s1, s3, v4, s1
	s_lshl_b64 s[10:11], s[6:7], 1
	s_set_inst_prefetch_distance 0x1
	s_branch .LBB3_6
	.p2align	6
.LBB3_4:                                ;   in Loop: Header=BB3_6 Depth=1
	s_or_b32 exec_lo, exec_lo, s3
.LBB3_5:                                ;   in Loop: Header=BB3_6 Depth=1
	s_delay_alu instid0(SALU_CYCLE_1) | instskip(SKIP_2) | instid1(VALU_DEP_1)
	s_or_b32 exec_lo, exec_lo, s2
	v_add_nc_u32_e32 v8, -1, v8
	v_add_co_u32 v1, s1, v1, s10
	v_add_co_ci_u32_e64 v2, s1, s11, v2, s1
	s_delay_alu instid0(VALU_DEP_3)
	v_cmp_eq_u32_e64 s1, 0, v8
	v_add_co_u32 v3, s2, v3, s6
	ds_store_b32 v9, v10
	v_add_nc_u32_e32 v9, 4, v9
	v_add_co_ci_u32_e64 v4, s2, s7, v4, s2
	s_or_b32 s12, s1, s12
	s_delay_alu instid0(SALU_CYCLE_1)
	s_and_not1_b32 exec_lo, exec_lo, s12
	s_cbranch_execz .LBB3_9
.LBB3_6:                                ; =>This Inner Loop Header: Depth=1
	v_mov_b32_e32 v10, 0xff800000
	s_and_saveexec_b32 s2, s0
	s_cbranch_execz .LBB3_5
; %bb.7:                                ;   in Loop: Header=BB3_6 Depth=1
	global_load_u8 v10, v[3:4], off
	s_waitcnt vmcnt(0)
	v_cmp_ne_u16_e64 s1, 1, v10
	v_mov_b32_e32 v10, 0xc61c4000
	s_delay_alu instid0(VALU_DEP_2)
	s_and_saveexec_b32 s3, s1
	s_cbranch_execz .LBB3_4
; %bb.8:                                ;   in Loop: Header=BB3_6 Depth=1
	global_load_u16 v10, v[1:2], off
	s_waitcnt vmcnt(0)
	v_cvt_f32_f16_e32 v10, v10
	s_delay_alu instid0(VALU_DEP_1)
	v_mul_f32_e32 v10, s4, v10
	s_branch .LBB3_4
.LBB3_9:
	s_set_inst_prefetch_distance 0x2
	s_or_b32 exec_lo, exec_lo, s12
	ds_load_2addr_b32 v[1:2], v6 offset1:1
.LBB3_10:
	s_or_b32 exec_lo, exec_lo, s5
	v_mbcnt_lo_u32_b32 v3, -1, 0
	s_mov_b32 s10, 0
	s_delay_alu instid0(VALU_DEP_1) | instskip(SKIP_3) | instid1(VALU_DEP_4)
	v_and_b32_e32 v4, 24, v3
	v_xor_b32_e32 v8, 4, v3
	v_xor_b32_e32 v11, 2, v3
	;; [unrolled: 1-line block ×3, first 2 shown]
	v_add_nc_u32_e32 v4, 8, v4
	s_delay_alu instid0(VALU_DEP_1) | instskip(NEXT) | instid1(VALU_DEP_1)
	v_cmp_lt_i32_e64 s0, v8, v4
	v_cndmask_b32_e64 v8, v3, v8, s0
	v_cmp_lt_i32_e64 s0, v11, v4
	s_delay_alu instid0(VALU_DEP_2) | instskip(NEXT) | instid1(VALU_DEP_2)
	v_lshlrev_b32_e32 v8, 2, v8
	v_cndmask_b32_e64 v11, v3, v11, s0
	s_waitcnt lgkmcnt(0)
	ds_bpermute_b32 v9, v8, v1
	ds_bpermute_b32 v10, v8, v2
	v_lshlrev_b32_e32 v11, 2, v11
	s_waitcnt lgkmcnt(1)
	v_cmp_lt_f32_e64 s0, v1, v9
	s_delay_alu instid0(VALU_DEP_1)
	v_cndmask_b32_e64 v9, v1, v9, s0
	s_waitcnt lgkmcnt(0)
	v_cmp_lt_f32_e64 s0, v2, v10
	ds_bpermute_b32 v12, v11, v9
	v_cndmask_b32_e64 v10, v2, v10, s0
	v_cmp_lt_i32_e64 s0, v14, v4
	ds_bpermute_b32 v13, v11, v10
	v_cndmask_b32_e64 v3, v3, v14, s0
	s_delay_alu instid0(VALU_DEP_1) | instskip(SKIP_2) | instid1(VALU_DEP_1)
	v_lshlrev_b32_e32 v14, 2, v3
	s_waitcnt lgkmcnt(1)
	v_cmp_lt_f32_e64 s0, v9, v12
	v_cndmask_b32_e64 v3, v9, v12, s0
	s_waitcnt lgkmcnt(0)
	v_cmp_lt_f32_e64 s0, v10, v13
	ds_bpermute_b32 v4, v14, v3
	v_cndmask_b32_e64 v9, v10, v13, s0
	s_waitcnt lgkmcnt(0)
	v_cmp_lt_f32_e64 s0, v3, v4
	s_delay_alu instid0(VALU_DEP_1) | instskip(NEXT) | instid1(VALU_DEP_1)
	v_cndmask_b32_e64 v4, v3, v4, s0
	v_sub_f32_e32 v1, v1, v4
	ds_bpermute_b32 v10, v14, v9
	s_waitcnt lgkmcnt(0)
	v_cmp_lt_f32_e64 s0, v9, v10
	s_delay_alu instid0(VALU_DEP_1) | instskip(SKIP_2) | instid1(VALU_DEP_2)
	v_cndmask_b32_e64 v3, v9, v10, s0
	v_mul_f32_e32 v9, 0x3fb8aa3b, v1
	v_cmp_ngt_f32_e64 s0, 0xc2ce8ed0, v1
	v_fma_f32 v12, 0x3fb8aa3b, v1, -v9
	v_rndne_f32_e32 v13, v9
	s_delay_alu instid0(VALU_DEP_2) | instskip(NEXT) | instid1(VALU_DEP_2)
	v_fmac_f32_e32 v12, 0x32a5705f, v1
	v_dual_sub_f32 v9, v9, v13 :: v_dual_sub_f32 v2, v2, v3
	s_delay_alu instid0(VALU_DEP_1) | instskip(SKIP_1) | instid1(VALU_DEP_2)
	v_dual_add_f32 v9, v9, v12 :: v_dual_mul_f32 v10, 0x3fb8aa3b, v2
	v_cvt_i32_f32_e32 v12, v13
	v_exp_f32_e32 v9, v9
	s_delay_alu instid0(VALU_DEP_2) | instskip(SKIP_1) | instid1(VALU_DEP_1)
	v_fma_f32 v15, 0x3fb8aa3b, v2, -v10
	v_rndne_f32_e32 v16, v10
	v_dual_fmac_f32 v15, 0x32a5705f, v2 :: v_dual_sub_f32 v10, v10, v16
	v_cvt_i32_f32_e32 v13, v16
	s_waitcnt_depctr 0xfff
	v_ldexp_f32 v9, v9, v12
	v_add_f32_e32 v10, v10, v15
	s_delay_alu instid0(VALU_DEP_2) | instskip(SKIP_1) | instid1(VALU_DEP_3)
	v_cndmask_b32_e64 v9, 0, v9, s0
	v_cmp_ngt_f32_e64 s0, 0xc2ce8ed0, v2
	v_exp_f32_e32 v10, v10
	s_waitcnt_depctr 0xfff
	v_ldexp_f32 v10, v10, v13
	s_delay_alu instid0(VALU_DEP_1) | instskip(SKIP_1) | instid1(VALU_DEP_1)
	v_cndmask_b32_e64 v10, 0, v10, s0
	v_cmp_nlt_f32_e64 s0, 0x42b17218, v1
	v_cndmask_b32_e64 v1, 0x7f800000, v9, s0
	v_cmp_nlt_f32_e64 s0, 0x42b17218, v2
	ds_bpermute_b32 v9, v8, v1
	v_cndmask_b32_e64 v2, 0x7f800000, v10, s0
	ds_bpermute_b32 v8, v8, v2
	ds_store_2addr_b32 v6, v1, v2 offset1:1
	s_waitcnt lgkmcnt(1)
	v_dual_add_f32 v9, v1, v9 :: v_dual_add_f32 v10, v2, v8
	ds_bpermute_b32 v8, v11, v9
	ds_bpermute_b32 v11, v11, v10
	s_waitcnt lgkmcnt(0)
	v_dual_add_f32 v8, v9, v8 :: v_dual_add_f32 v9, v10, v11
	ds_bpermute_b32 v10, v14, v8
	ds_bpermute_b32 v11, v14, v9
	s_and_saveexec_b32 s0, vcc_lo
	s_cbranch_execz .LBB3_17
; %bb.11:
	v_ashrrev_i32_e32 v1, 31, v0
	v_cmp_eq_f32_e32 vcc_lo, 0xc61c4000, v4
	s_waitcnt lgkmcnt(1)
	v_add_f32_e32 v4, v8, v10
	s_waitcnt lgkmcnt(0)
	v_add_f32_e32 v8, v9, v11
	v_cmp_gt_i32_e64 s0, s6, v7
	v_lshlrev_b64 v[0:1], 1, v[0:1]
	v_cndmask_b32_e64 v2, 1.0, 0, vcc_lo
	v_cmp_eq_f32_e32 vcc_lo, 0xc61c4000, v3
	s_ashr_i32 s7, s6, 31
	s_mov_b64 s[4:5], 0
	s_lshl_b64 s[2:3], s[6:7], 1
	v_cndmask_b32_e64 v3, 1.0, 0, vcc_lo
	v_add_co_u32 v0, vcc_lo, s8, v0
	v_add_co_ci_u32_e32 v1, vcc_lo, s9, v1, vcc_lo
	s_branch .LBB3_14
.LBB3_12:                               ;   in Loop: Header=BB3_14 Depth=1
	s_or_b32 exec_lo, exec_lo, s6
	global_store_b16 v[0:1], v7, off
.LBB3_13:                               ;   in Loop: Header=BB3_14 Depth=1
	s_or_b32 exec_lo, exec_lo, s1
	s_add_u32 s4, s4, 1
	v_add_co_u32 v0, s1, v0, s2
	v_cmp_eq_u32_e32 vcc_lo, s4, v5
	v_add_co_ci_u32_e64 v1, s1, s3, v1, s1
	v_add_nc_u32_e32 v6, 4, v6
	s_addc_u32 s5, s5, 0
	s_or_b32 s10, vcc_lo, s10
	s_delay_alu instid0(SALU_CYCLE_1)
	s_and_not1_b32 exec_lo, exec_lo, s10
	s_cbranch_execz .LBB3_17
.LBB3_14:                               ; =>This Inner Loop Header: Depth=1
	s_and_saveexec_b32 s1, s0
	s_cbranch_execz .LBB3_13
; %bb.15:                               ;   in Loop: Header=BB3_14 Depth=1
	s_cmp_eq_u32 s4, 1
	s_cselect_b32 vcc_lo, -1, 0
	v_cndmask_b32_e32 v7, v2, v3, vcc_lo
	s_delay_alu instid0(VALU_DEP_1)
	v_cmp_neq_f32_e32 vcc_lo, 0, v7
	v_mov_b32_e32 v7, 0
	s_and_saveexec_b32 s6, vcc_lo
	s_cbranch_execz .LBB3_12
; %bb.16:                               ;   in Loop: Header=BB3_14 Depth=1
	ds_load_b32 v7, v6
	s_cmp_eq_u32 s4, 1
	s_cselect_b32 vcc_lo, -1, 0
	v_cndmask_b32_e32 v9, v4, v8, vcc_lo
	s_waitcnt lgkmcnt(0)
	s_delay_alu instid0(VALU_DEP_1) | instskip(NEXT) | instid1(VALU_DEP_1)
	v_div_scale_f32 v10, null, v9, v9, v7
	v_rcp_f32_e32 v11, v10
	s_waitcnt_depctr 0xfff
	v_fma_f32 v12, -v10, v11, 1.0
	s_delay_alu instid0(VALU_DEP_1) | instskip(SKIP_1) | instid1(VALU_DEP_1)
	v_fmac_f32_e32 v11, v12, v11
	v_div_scale_f32 v12, vcc_lo, v7, v9, v7
	v_mul_f32_e32 v13, v12, v11
	s_delay_alu instid0(VALU_DEP_1) | instskip(NEXT) | instid1(VALU_DEP_1)
	v_fma_f32 v14, -v10, v13, v12
	v_fmac_f32_e32 v13, v14, v11
	s_delay_alu instid0(VALU_DEP_1) | instskip(NEXT) | instid1(VALU_DEP_1)
	v_fma_f32 v10, -v10, v13, v12
	v_div_fmas_f32 v10, v10, v11, v13
	s_delay_alu instid0(VALU_DEP_1) | instskip(NEXT) | instid1(VALU_DEP_1)
	v_div_fixup_f32 v7, v10, v9, v7
	v_cvt_f16_f32_e32 v7, v7
	s_branch .LBB3_12
.LBB3_17:
	s_nop 0
	s_sendmsg sendmsg(MSG_DEALLOC_VGPRS)
	s_endpgm
	.section	.rodata,"a",@progbits
	.p2align	6, 0x0
	.amdhsa_kernel _Z34scaled_masked_softmax_warp_forwardI6__halfS0_fLi3EEvPT0_PKT_PKhT1_iii
		.amdhsa_group_segment_fixed_size 8192
		.amdhsa_private_segment_fixed_size 0
		.amdhsa_kernarg_size 296
		.amdhsa_user_sgpr_count 13
		.amdhsa_user_sgpr_dispatch_ptr 1
		.amdhsa_user_sgpr_queue_ptr 0
		.amdhsa_user_sgpr_kernarg_segment_ptr 1
		.amdhsa_user_sgpr_dispatch_id 0
		.amdhsa_user_sgpr_private_segment_size 0
		.amdhsa_wavefront_size32 1
		.amdhsa_uses_dynamic_stack 0
		.amdhsa_enable_private_segment 0
		.amdhsa_system_sgpr_workgroup_id_x 1
		.amdhsa_system_sgpr_workgroup_id_y 1
		.amdhsa_system_sgpr_workgroup_id_z 1
		.amdhsa_system_sgpr_workgroup_info 0
		.amdhsa_system_vgpr_workitem_id 2
		.amdhsa_next_free_vgpr 17
		.amdhsa_next_free_sgpr 18
		.amdhsa_reserve_vcc 1
		.amdhsa_float_round_mode_32 0
		.amdhsa_float_round_mode_16_64 0
		.amdhsa_float_denorm_mode_32 3
		.amdhsa_float_denorm_mode_16_64 3
		.amdhsa_dx10_clamp 1
		.amdhsa_ieee_mode 1
		.amdhsa_fp16_overflow 0
		.amdhsa_workgroup_processor_mode 1
		.amdhsa_memory_ordered 1
		.amdhsa_forward_progress 0
		.amdhsa_shared_vgpr_count 0
		.amdhsa_exception_fp_ieee_invalid_op 0
		.amdhsa_exception_fp_denorm_src 0
		.amdhsa_exception_fp_ieee_div_zero 0
		.amdhsa_exception_fp_ieee_overflow 0
		.amdhsa_exception_fp_ieee_underflow 0
		.amdhsa_exception_fp_ieee_inexact 0
		.amdhsa_exception_int_div_zero 0
	.end_amdhsa_kernel
	.section	.text._Z34scaled_masked_softmax_warp_forwardI6__halfS0_fLi3EEvPT0_PKT_PKhT1_iii,"axG",@progbits,_Z34scaled_masked_softmax_warp_forwardI6__halfS0_fLi3EEvPT0_PKT_PKhT1_iii,comdat
.Lfunc_end3:
	.size	_Z34scaled_masked_softmax_warp_forwardI6__halfS0_fLi3EEvPT0_PKT_PKhT1_iii, .Lfunc_end3-_Z34scaled_masked_softmax_warp_forwardI6__halfS0_fLi3EEvPT0_PKT_PKhT1_iii
                                        ; -- End function
	.section	.AMDGPU.csdata,"",@progbits
; Kernel info:
; codeLenInByte = 1512
; NumSgprs: 20
; NumVgprs: 17
; ScratchSize: 0
; MemoryBound: 0
; FloatMode: 240
; IeeeMode: 1
; LDSByteSize: 8192 bytes/workgroup (compile time only)
; SGPRBlocks: 2
; VGPRBlocks: 2
; NumSGPRsForWavesPerEU: 20
; NumVGPRsForWavesPerEU: 17
; Occupancy: 16
; WaveLimiterHint : 0
; COMPUTE_PGM_RSRC2:SCRATCH_EN: 0
; COMPUTE_PGM_RSRC2:USER_SGPR: 13
; COMPUTE_PGM_RSRC2:TRAP_HANDLER: 0
; COMPUTE_PGM_RSRC2:TGID_X_EN: 1
; COMPUTE_PGM_RSRC2:TGID_Y_EN: 1
; COMPUTE_PGM_RSRC2:TGID_Z_EN: 1
; COMPUTE_PGM_RSRC2:TIDIG_COMP_CNT: 2
	.section	.text._Z34scaled_masked_softmax_warp_forwardI6__halfS0_fLi4EEvPT0_PKT_PKhT1_iii,"axG",@progbits,_Z34scaled_masked_softmax_warp_forwardI6__halfS0_fLi4EEvPT0_PKT_PKhT1_iii,comdat
	.protected	_Z34scaled_masked_softmax_warp_forwardI6__halfS0_fLi4EEvPT0_PKT_PKhT1_iii ; -- Begin function _Z34scaled_masked_softmax_warp_forwardI6__halfS0_fLi4EEvPT0_PKT_PKhT1_iii
	.globl	_Z34scaled_masked_softmax_warp_forwardI6__halfS0_fLi4EEvPT0_PKT_PKhT1_iii
	.p2align	8
	.type	_Z34scaled_masked_softmax_warp_forwardI6__halfS0_fLi4EEvPT0_PKT_PKhT1_iii,@function
_Z34scaled_masked_softmax_warp_forwardI6__halfS0_fLi4EEvPT0_PKT_PKhT1_iii: ; @_Z34scaled_masked_softmax_warp_forwardI6__halfS0_fLi4EEvPT0_PKT_PKhT1_iii
; %bb.0:
	s_clause 0x2
	s_load_b32 s10, s[2:3], 0x34
	s_load_b128 s[4:7], s[2:3], 0x18
	s_load_b64 s[8:9], s[2:3], 0x28
	s_waitcnt lgkmcnt(0)
	s_lshr_b32 s10, s10, 16
	s_cmp_eq_u32 s7, 1
	s_mov_b32 s7, s13
	s_cbranch_scc1 .LBB4_2
; %bb.1:
	s_mul_i32 s7, s8, s15
	s_delay_alu instid0(SALU_CYCLE_1)
	s_add_i32 s7, s7, s13
.LBB4_2:
	s_load_b64 s[16:17], s[0:1], 0x4
	s_mul_i32 s0, s9, s15
	v_bfe_u32 v2, v0, 10, 10
	s_add_i32 s0, s0, s14
	v_and_b32_e32 v7, 0x3ff, v0
	s_mul_i32 s1, s8, s0
	s_and_b32 s0, 0xffff, s10
	s_add_i32 s1, s1, s13
	s_clause 0x1
	s_load_b128 s[8:11], s[2:3], 0x0
	s_load_b64 s[2:3], s[2:3], 0x10
	v_mad_u64_u32 v[3:4], null, s1, s0, v[2:3]
	v_bfe_u32 v0, v0, 20, 10
	s_mov_b32 s12, 0
	s_delay_alu instid0(VALU_DEP_2) | instskip(SKIP_3) | instid1(VALU_DEP_2)
	v_lshlrev_b32_e32 v1, 1, v3
	v_mul_lo_u32 v3, s6, v3
	s_waitcnt lgkmcnt(0)
	s_lshr_b32 s1, s16, 16
	v_sub_nc_u32_e32 v1, s5, v1
	s_mul_i32 s1, s1, s17
	s_delay_alu instid0(SALU_CYCLE_1) | instskip(NEXT) | instid1(VALU_DEP_2)
	v_mul_lo_u32 v4, s1, v7
	v_min_i32_e32 v5, 2, v1
	v_cmp_lt_i32_e32 vcc_lo, 0, v1
                                        ; implicit-def: $vgpr1
	s_delay_alu instid0(VALU_DEP_2) | instskip(NEXT) | instid1(VALU_DEP_4)
	v_max_i32_e32 v5, 1, v5
	v_mad_u32_u24 v4, v2, s17, v4
	s_delay_alu instid0(VALU_DEP_1)
	v_add_lshl_u32 v6, v4, v0, 3
	v_lshl_add_u32 v0, v3, 1, v7
	s_and_saveexec_b32 s5, vcc_lo
	s_cbranch_execz .LBB4_10
; %bb.3:
	v_mad_u64_u32 v[3:4], null, s7, s0, v[2:3]
	s_delay_alu instid0(VALU_DEP_2) | instskip(SKIP_3) | instid1(VALU_DEP_4)
	v_ashrrev_i32_e32 v1, 31, v0
	v_cmp_gt_i32_e64 s0, s6, v7
	v_dual_mov_b32 v8, v5 :: v_dual_mov_b32 v9, v6
	s_ashr_i32 s7, s6, 31
	v_mul_lo_u32 v2, s6, v3
	s_delay_alu instid0(VALU_DEP_1) | instskip(SKIP_1) | instid1(VALU_DEP_2)
	v_lshl_add_u32 v3, v2, 1, v7
	v_lshlrev_b64 v[1:2], 1, v[0:1]
	v_ashrrev_i32_e32 v4, 31, v3
	s_delay_alu instid0(VALU_DEP_2) | instskip(NEXT) | instid1(VALU_DEP_1)
	v_add_co_u32 v1, s1, s10, v1
	v_add_co_ci_u32_e64 v2, s1, s11, v2, s1
	v_add_co_u32 v3, s1, s2, v3
	s_delay_alu instid0(VALU_DEP_1)
	v_add_co_ci_u32_e64 v4, s1, s3, v4, s1
	s_lshl_b64 s[10:11], s[6:7], 1
	s_set_inst_prefetch_distance 0x1
	s_branch .LBB4_6
	.p2align	6
.LBB4_4:                                ;   in Loop: Header=BB4_6 Depth=1
	s_or_b32 exec_lo, exec_lo, s3
.LBB4_5:                                ;   in Loop: Header=BB4_6 Depth=1
	s_delay_alu instid0(SALU_CYCLE_1) | instskip(SKIP_2) | instid1(VALU_DEP_1)
	s_or_b32 exec_lo, exec_lo, s2
	v_add_nc_u32_e32 v8, -1, v8
	v_add_co_u32 v1, s1, v1, s10
	v_add_co_ci_u32_e64 v2, s1, s11, v2, s1
	s_delay_alu instid0(VALU_DEP_3)
	v_cmp_eq_u32_e64 s1, 0, v8
	v_add_co_u32 v3, s2, v3, s6
	ds_store_b32 v9, v10
	v_add_nc_u32_e32 v9, 4, v9
	v_add_co_ci_u32_e64 v4, s2, s7, v4, s2
	s_or_b32 s12, s1, s12
	s_delay_alu instid0(SALU_CYCLE_1)
	s_and_not1_b32 exec_lo, exec_lo, s12
	s_cbranch_execz .LBB4_9
.LBB4_6:                                ; =>This Inner Loop Header: Depth=1
	v_mov_b32_e32 v10, 0xff800000
	s_and_saveexec_b32 s2, s0
	s_cbranch_execz .LBB4_5
; %bb.7:                                ;   in Loop: Header=BB4_6 Depth=1
	global_load_u8 v10, v[3:4], off
	s_waitcnt vmcnt(0)
	v_cmp_ne_u16_e64 s1, 1, v10
	v_mov_b32_e32 v10, 0xc61c4000
	s_delay_alu instid0(VALU_DEP_2)
	s_and_saveexec_b32 s3, s1
	s_cbranch_execz .LBB4_4
; %bb.8:                                ;   in Loop: Header=BB4_6 Depth=1
	global_load_u16 v10, v[1:2], off
	s_waitcnt vmcnt(0)
	v_cvt_f32_f16_e32 v10, v10
	s_delay_alu instid0(VALU_DEP_1)
	v_mul_f32_e32 v10, s4, v10
	s_branch .LBB4_4
.LBB4_9:
	s_set_inst_prefetch_distance 0x2
	s_or_b32 exec_lo, exec_lo, s12
	ds_load_2addr_b32 v[1:2], v6 offset1:1
.LBB4_10:
	s_or_b32 exec_lo, exec_lo, s5
	v_mbcnt_lo_u32_b32 v3, -1, 0
	s_mov_b32 s10, 0
	s_delay_alu instid0(VALU_DEP_1)
	v_and_b32_e32 v4, 16, v3
	v_xor_b32_e32 v8, 8, v3
	v_xor_b32_e32 v11, 4, v3
	;; [unrolled: 1-line block ×4, first 2 shown]
	v_add_nc_u32_e32 v4, 16, v4
	s_delay_alu instid0(VALU_DEP_1) | instskip(NEXT) | instid1(VALU_DEP_1)
	v_cmp_lt_i32_e64 s0, v8, v4
	v_cndmask_b32_e64 v8, v3, v8, s0
	v_cmp_lt_i32_e64 s0, v11, v4
	s_delay_alu instid0(VALU_DEP_2) | instskip(NEXT) | instid1(VALU_DEP_2)
	v_lshlrev_b32_e32 v8, 2, v8
	v_cndmask_b32_e64 v11, v3, v11, s0
	s_waitcnt lgkmcnt(0)
	ds_bpermute_b32 v9, v8, v1
	ds_bpermute_b32 v10, v8, v2
	v_lshlrev_b32_e32 v11, 2, v11
	s_waitcnt lgkmcnt(1)
	v_cmp_lt_f32_e64 s0, v1, v9
	s_delay_alu instid0(VALU_DEP_1)
	v_cndmask_b32_e64 v9, v1, v9, s0
	s_waitcnt lgkmcnt(0)
	v_cmp_lt_f32_e64 s0, v2, v10
	ds_bpermute_b32 v12, v11, v9
	v_cndmask_b32_e64 v10, v2, v10, s0
	v_cmp_lt_i32_e64 s0, v14, v4
	ds_bpermute_b32 v13, v11, v10
	v_cndmask_b32_e64 v14, v3, v14, s0
	s_delay_alu instid0(VALU_DEP_1) | instskip(SKIP_2) | instid1(VALU_DEP_1)
	v_lshlrev_b32_e32 v14, 2, v14
	s_waitcnt lgkmcnt(1)
	v_cmp_lt_f32_e64 s0, v9, v12
	v_cndmask_b32_e64 v9, v9, v12, s0
	s_waitcnt lgkmcnt(0)
	v_cmp_lt_f32_e64 s0, v10, v13
	ds_bpermute_b32 v12, v14, v9
	v_cndmask_b32_e64 v10, v10, v13, s0
	v_cmp_lt_i32_e64 s0, v15, v4
	ds_bpermute_b32 v13, v14, v10
	v_cndmask_b32_e64 v3, v3, v15, s0
	s_delay_alu instid0(VALU_DEP_1) | instskip(SKIP_2) | instid1(VALU_DEP_1)
	v_lshlrev_b32_e32 v15, 2, v3
	s_waitcnt lgkmcnt(1)
	v_cmp_lt_f32_e64 s0, v9, v12
	v_cndmask_b32_e64 v3, v9, v12, s0
	s_waitcnt lgkmcnt(0)
	v_cmp_lt_f32_e64 s0, v10, v13
	ds_bpermute_b32 v4, v15, v3
	v_cndmask_b32_e64 v9, v10, v13, s0
	ds_bpermute_b32 v10, v15, v9
	s_waitcnt lgkmcnt(1)
	v_cmp_lt_f32_e64 s0, v3, v4
	s_delay_alu instid0(VALU_DEP_1) | instskip(SKIP_2) | instid1(VALU_DEP_2)
	v_cndmask_b32_e64 v4, v3, v4, s0
	s_waitcnt lgkmcnt(0)
	v_cmp_lt_f32_e64 s0, v9, v10
	v_sub_f32_e32 v1, v1, v4
	s_delay_alu instid0(VALU_DEP_2) | instskip(NEXT) | instid1(VALU_DEP_2)
	v_cndmask_b32_e64 v3, v9, v10, s0
	v_mul_f32_e32 v9, 0x3fb8aa3b, v1
	v_cmp_ngt_f32_e64 s0, 0xc2ce8ed0, v1
	s_delay_alu instid0(VALU_DEP_2) | instskip(SKIP_1) | instid1(VALU_DEP_2)
	v_fma_f32 v12, 0x3fb8aa3b, v1, -v9
	v_rndne_f32_e32 v13, v9
	v_fmac_f32_e32 v12, 0x32a5705f, v1
	s_delay_alu instid0(VALU_DEP_2) | instskip(NEXT) | instid1(VALU_DEP_1)
	v_dual_sub_f32 v9, v9, v13 :: v_dual_sub_f32 v2, v2, v3
	v_dual_add_f32 v9, v9, v12 :: v_dual_mul_f32 v10, 0x3fb8aa3b, v2
	v_cvt_i32_f32_e32 v12, v13
	s_delay_alu instid0(VALU_DEP_2) | instskip(NEXT) | instid1(VALU_DEP_2)
	v_exp_f32_e32 v9, v9
	v_fma_f32 v16, 0x3fb8aa3b, v2, -v10
	v_rndne_f32_e32 v17, v10
	s_delay_alu instid0(VALU_DEP_2) | instskip(NEXT) | instid1(VALU_DEP_2)
	v_fmac_f32_e32 v16, 0x32a5705f, v2
	v_sub_f32_e32 v10, v10, v17
	v_cvt_i32_f32_e32 v13, v17
	s_waitcnt_depctr 0xfff
	v_ldexp_f32 v9, v9, v12
	v_add_f32_e32 v10, v10, v16
	s_delay_alu instid0(VALU_DEP_2) | instskip(SKIP_1) | instid1(VALU_DEP_3)
	v_cndmask_b32_e64 v9, 0, v9, s0
	v_cmp_ngt_f32_e64 s0, 0xc2ce8ed0, v2
	v_exp_f32_e32 v10, v10
	s_waitcnt_depctr 0xfff
	v_ldexp_f32 v10, v10, v13
	s_delay_alu instid0(VALU_DEP_1) | instskip(SKIP_1) | instid1(VALU_DEP_1)
	v_cndmask_b32_e64 v10, 0, v10, s0
	v_cmp_nlt_f32_e64 s0, 0x42b17218, v1
	v_cndmask_b32_e64 v1, 0x7f800000, v9, s0
	v_cmp_nlt_f32_e64 s0, 0x42b17218, v2
	ds_bpermute_b32 v9, v8, v1
	v_cndmask_b32_e64 v2, 0x7f800000, v10, s0
	ds_store_2addr_b32 v6, v1, v2 offset1:1
	s_waitcnt lgkmcnt(1)
	v_add_f32_e32 v9, v1, v9
	ds_bpermute_b32 v8, v8, v2
	ds_bpermute_b32 v10, v11, v9
	s_waitcnt lgkmcnt(0)
	v_dual_add_f32 v8, v2, v8 :: v_dual_add_f32 v9, v9, v10
	ds_bpermute_b32 v11, v11, v8
	s_waitcnt lgkmcnt(0)
	v_add_f32_e32 v10, v8, v11
	ds_bpermute_b32 v8, v14, v9
	ds_bpermute_b32 v11, v14, v10
	s_waitcnt lgkmcnt(0)
	v_dual_add_f32 v8, v9, v8 :: v_dual_add_f32 v9, v10, v11
	ds_bpermute_b32 v10, v15, v8
	ds_bpermute_b32 v11, v15, v9
	s_and_saveexec_b32 s0, vcc_lo
	s_cbranch_execz .LBB4_17
; %bb.11:
	v_ashrrev_i32_e32 v1, 31, v0
	v_cmp_eq_f32_e32 vcc_lo, 0xc61c4000, v4
	s_waitcnt lgkmcnt(1)
	v_add_f32_e32 v4, v8, v10
	s_waitcnt lgkmcnt(0)
	v_add_f32_e32 v8, v9, v11
	v_cmp_gt_i32_e64 s0, s6, v7
	v_lshlrev_b64 v[0:1], 1, v[0:1]
	v_cndmask_b32_e64 v2, 1.0, 0, vcc_lo
	v_cmp_eq_f32_e32 vcc_lo, 0xc61c4000, v3
	s_ashr_i32 s7, s6, 31
	s_mov_b64 s[4:5], 0
	s_lshl_b64 s[2:3], s[6:7], 1
	v_cndmask_b32_e64 v3, 1.0, 0, vcc_lo
	v_add_co_u32 v0, vcc_lo, s8, v0
	v_add_co_ci_u32_e32 v1, vcc_lo, s9, v1, vcc_lo
	s_branch .LBB4_14
.LBB4_12:                               ;   in Loop: Header=BB4_14 Depth=1
	s_or_b32 exec_lo, exec_lo, s6
	global_store_b16 v[0:1], v7, off
.LBB4_13:                               ;   in Loop: Header=BB4_14 Depth=1
	s_or_b32 exec_lo, exec_lo, s1
	s_add_u32 s4, s4, 1
	v_add_co_u32 v0, s1, v0, s2
	v_cmp_eq_u32_e32 vcc_lo, s4, v5
	v_add_co_ci_u32_e64 v1, s1, s3, v1, s1
	v_add_nc_u32_e32 v6, 4, v6
	s_addc_u32 s5, s5, 0
	s_or_b32 s10, vcc_lo, s10
	s_delay_alu instid0(SALU_CYCLE_1)
	s_and_not1_b32 exec_lo, exec_lo, s10
	s_cbranch_execz .LBB4_17
.LBB4_14:                               ; =>This Inner Loop Header: Depth=1
	s_and_saveexec_b32 s1, s0
	s_cbranch_execz .LBB4_13
; %bb.15:                               ;   in Loop: Header=BB4_14 Depth=1
	s_cmp_eq_u32 s4, 1
	s_cselect_b32 vcc_lo, -1, 0
	v_cndmask_b32_e32 v7, v2, v3, vcc_lo
	s_delay_alu instid0(VALU_DEP_1)
	v_cmp_neq_f32_e32 vcc_lo, 0, v7
	v_mov_b32_e32 v7, 0
	s_and_saveexec_b32 s6, vcc_lo
	s_cbranch_execz .LBB4_12
; %bb.16:                               ;   in Loop: Header=BB4_14 Depth=1
	ds_load_b32 v7, v6
	s_cmp_eq_u32 s4, 1
	s_cselect_b32 vcc_lo, -1, 0
	v_cndmask_b32_e32 v9, v4, v8, vcc_lo
	s_waitcnt lgkmcnt(0)
	s_delay_alu instid0(VALU_DEP_1) | instskip(NEXT) | instid1(VALU_DEP_1)
	v_div_scale_f32 v10, null, v9, v9, v7
	v_rcp_f32_e32 v11, v10
	s_waitcnt_depctr 0xfff
	v_fma_f32 v12, -v10, v11, 1.0
	s_delay_alu instid0(VALU_DEP_1) | instskip(SKIP_1) | instid1(VALU_DEP_1)
	v_fmac_f32_e32 v11, v12, v11
	v_div_scale_f32 v12, vcc_lo, v7, v9, v7
	v_mul_f32_e32 v13, v12, v11
	s_delay_alu instid0(VALU_DEP_1) | instskip(NEXT) | instid1(VALU_DEP_1)
	v_fma_f32 v14, -v10, v13, v12
	v_fmac_f32_e32 v13, v14, v11
	s_delay_alu instid0(VALU_DEP_1) | instskip(NEXT) | instid1(VALU_DEP_1)
	v_fma_f32 v10, -v10, v13, v12
	v_div_fmas_f32 v10, v10, v11, v13
	s_delay_alu instid0(VALU_DEP_1) | instskip(NEXT) | instid1(VALU_DEP_1)
	v_div_fixup_f32 v7, v10, v9, v7
	v_cvt_f16_f32_e32 v7, v7
	s_branch .LBB4_12
.LBB4_17:
	s_nop 0
	s_sendmsg sendmsg(MSG_DEALLOC_VGPRS)
	s_endpgm
	.section	.rodata,"a",@progbits
	.p2align	6, 0x0
	.amdhsa_kernel _Z34scaled_masked_softmax_warp_forwardI6__halfS0_fLi4EEvPT0_PKT_PKhT1_iii
		.amdhsa_group_segment_fixed_size 8192
		.amdhsa_private_segment_fixed_size 0
		.amdhsa_kernarg_size 296
		.amdhsa_user_sgpr_count 13
		.amdhsa_user_sgpr_dispatch_ptr 1
		.amdhsa_user_sgpr_queue_ptr 0
		.amdhsa_user_sgpr_kernarg_segment_ptr 1
		.amdhsa_user_sgpr_dispatch_id 0
		.amdhsa_user_sgpr_private_segment_size 0
		.amdhsa_wavefront_size32 1
		.amdhsa_uses_dynamic_stack 0
		.amdhsa_enable_private_segment 0
		.amdhsa_system_sgpr_workgroup_id_x 1
		.amdhsa_system_sgpr_workgroup_id_y 1
		.amdhsa_system_sgpr_workgroup_id_z 1
		.amdhsa_system_sgpr_workgroup_info 0
		.amdhsa_system_vgpr_workitem_id 2
		.amdhsa_next_free_vgpr 18
		.amdhsa_next_free_sgpr 18
		.amdhsa_reserve_vcc 1
		.amdhsa_float_round_mode_32 0
		.amdhsa_float_round_mode_16_64 0
		.amdhsa_float_denorm_mode_32 3
		.amdhsa_float_denorm_mode_16_64 3
		.amdhsa_dx10_clamp 1
		.amdhsa_ieee_mode 1
		.amdhsa_fp16_overflow 0
		.amdhsa_workgroup_processor_mode 1
		.amdhsa_memory_ordered 1
		.amdhsa_forward_progress 0
		.amdhsa_shared_vgpr_count 0
		.amdhsa_exception_fp_ieee_invalid_op 0
		.amdhsa_exception_fp_denorm_src 0
		.amdhsa_exception_fp_ieee_div_zero 0
		.amdhsa_exception_fp_ieee_overflow 0
		.amdhsa_exception_fp_ieee_underflow 0
		.amdhsa_exception_fp_ieee_inexact 0
		.amdhsa_exception_int_div_zero 0
	.end_amdhsa_kernel
	.section	.text._Z34scaled_masked_softmax_warp_forwardI6__halfS0_fLi4EEvPT0_PKT_PKhT1_iii,"axG",@progbits,_Z34scaled_masked_softmax_warp_forwardI6__halfS0_fLi4EEvPT0_PKT_PKhT1_iii,comdat
.Lfunc_end4:
	.size	_Z34scaled_masked_softmax_warp_forwardI6__halfS0_fLi4EEvPT0_PKT_PKhT1_iii, .Lfunc_end4-_Z34scaled_masked_softmax_warp_forwardI6__halfS0_fLi4EEvPT0_PKT_PKhT1_iii
                                        ; -- End function
	.section	.AMDGPU.csdata,"",@progbits
; Kernel info:
; codeLenInByte = 1632
; NumSgprs: 20
; NumVgprs: 18
; ScratchSize: 0
; MemoryBound: 0
; FloatMode: 240
; IeeeMode: 1
; LDSByteSize: 8192 bytes/workgroup (compile time only)
; SGPRBlocks: 2
; VGPRBlocks: 2
; NumSGPRsForWavesPerEU: 20
; NumVGPRsForWavesPerEU: 18
; Occupancy: 16
; WaveLimiterHint : 0
; COMPUTE_PGM_RSRC2:SCRATCH_EN: 0
; COMPUTE_PGM_RSRC2:USER_SGPR: 13
; COMPUTE_PGM_RSRC2:TRAP_HANDLER: 0
; COMPUTE_PGM_RSRC2:TGID_X_EN: 1
; COMPUTE_PGM_RSRC2:TGID_Y_EN: 1
; COMPUTE_PGM_RSRC2:TGID_Z_EN: 1
; COMPUTE_PGM_RSRC2:TIDIG_COMP_CNT: 2
	.section	.text._Z34scaled_masked_softmax_warp_forwardI6__halfS0_fLi5EEvPT0_PKT_PKhT1_iii,"axG",@progbits,_Z34scaled_masked_softmax_warp_forwardI6__halfS0_fLi5EEvPT0_PKT_PKhT1_iii,comdat
	.protected	_Z34scaled_masked_softmax_warp_forwardI6__halfS0_fLi5EEvPT0_PKT_PKhT1_iii ; -- Begin function _Z34scaled_masked_softmax_warp_forwardI6__halfS0_fLi5EEvPT0_PKT_PKhT1_iii
	.globl	_Z34scaled_masked_softmax_warp_forwardI6__halfS0_fLi5EEvPT0_PKT_PKhT1_iii
	.p2align	8
	.type	_Z34scaled_masked_softmax_warp_forwardI6__halfS0_fLi5EEvPT0_PKT_PKhT1_iii,@function
_Z34scaled_masked_softmax_warp_forwardI6__halfS0_fLi5EEvPT0_PKT_PKhT1_iii: ; @_Z34scaled_masked_softmax_warp_forwardI6__halfS0_fLi5EEvPT0_PKT_PKhT1_iii
; %bb.0:
	s_clause 0x2
	s_load_b32 s10, s[2:3], 0x34
	s_load_b128 s[4:7], s[2:3], 0x18
	s_load_b64 s[8:9], s[2:3], 0x28
	s_waitcnt lgkmcnt(0)
	s_lshr_b32 s10, s10, 16
	s_cmp_eq_u32 s7, 1
	s_mov_b32 s7, s13
	s_cbranch_scc1 .LBB5_2
; %bb.1:
	s_mul_i32 s7, s8, s15
	s_delay_alu instid0(SALU_CYCLE_1)
	s_add_i32 s7, s7, s13
.LBB5_2:
	s_load_b64 s[16:17], s[0:1], 0x4
	s_mul_i32 s0, s9, s15
	v_bfe_u32 v2, v0, 10, 10
	s_add_i32 s0, s0, s14
	v_and_b32_e32 v7, 0x3ff, v0
	s_mul_i32 s1, s8, s0
	s_and_b32 s0, 0xffff, s10
	s_add_i32 s1, s1, s13
	s_clause 0x1
	s_load_b128 s[8:11], s[2:3], 0x0
	s_load_b64 s[2:3], s[2:3], 0x10
	v_mad_u64_u32 v[3:4], null, s1, s0, v[2:3]
	v_bfe_u32 v0, v0, 20, 10
	s_mov_b32 s12, 0
	s_delay_alu instid0(VALU_DEP_2) | instskip(SKIP_3) | instid1(VALU_DEP_2)
	v_lshlrev_b32_e32 v1, 1, v3
	v_mul_lo_u32 v3, s6, v3
	s_waitcnt lgkmcnt(0)
	s_lshr_b32 s1, s16, 16
	v_sub_nc_u32_e32 v1, s5, v1
	s_mul_i32 s1, s1, s17
	s_delay_alu instid0(SALU_CYCLE_1) | instskip(NEXT) | instid1(VALU_DEP_2)
	v_mul_lo_u32 v4, s1, v7
	v_min_i32_e32 v5, 2, v1
	v_cmp_lt_i32_e32 vcc_lo, 0, v1
                                        ; implicit-def: $vgpr1
	s_delay_alu instid0(VALU_DEP_2) | instskip(NEXT) | instid1(VALU_DEP_4)
	v_max_i32_e32 v5, 1, v5
	v_mad_u32_u24 v4, v2, s17, v4
	s_delay_alu instid0(VALU_DEP_1)
	v_add_lshl_u32 v6, v4, v0, 3
	v_lshl_add_u32 v0, v3, 1, v7
	s_and_saveexec_b32 s5, vcc_lo
	s_cbranch_execz .LBB5_10
; %bb.3:
	v_mad_u64_u32 v[3:4], null, s7, s0, v[2:3]
	s_delay_alu instid0(VALU_DEP_2) | instskip(SKIP_3) | instid1(VALU_DEP_4)
	v_ashrrev_i32_e32 v1, 31, v0
	v_cmp_gt_i32_e64 s0, s6, v7
	v_dual_mov_b32 v8, v5 :: v_dual_mov_b32 v9, v6
	s_ashr_i32 s7, s6, 31
	v_mul_lo_u32 v2, s6, v3
	s_delay_alu instid0(VALU_DEP_1) | instskip(SKIP_1) | instid1(VALU_DEP_2)
	v_lshl_add_u32 v3, v2, 1, v7
	v_lshlrev_b64 v[1:2], 1, v[0:1]
	v_ashrrev_i32_e32 v4, 31, v3
	s_delay_alu instid0(VALU_DEP_2) | instskip(NEXT) | instid1(VALU_DEP_1)
	v_add_co_u32 v1, s1, s10, v1
	v_add_co_ci_u32_e64 v2, s1, s11, v2, s1
	v_add_co_u32 v3, s1, s2, v3
	s_delay_alu instid0(VALU_DEP_1)
	v_add_co_ci_u32_e64 v4, s1, s3, v4, s1
	s_lshl_b64 s[10:11], s[6:7], 1
	s_set_inst_prefetch_distance 0x1
	s_branch .LBB5_6
	.p2align	6
.LBB5_4:                                ;   in Loop: Header=BB5_6 Depth=1
	s_or_b32 exec_lo, exec_lo, s3
.LBB5_5:                                ;   in Loop: Header=BB5_6 Depth=1
	s_delay_alu instid0(SALU_CYCLE_1) | instskip(SKIP_2) | instid1(VALU_DEP_1)
	s_or_b32 exec_lo, exec_lo, s2
	v_add_nc_u32_e32 v8, -1, v8
	v_add_co_u32 v1, s1, v1, s10
	v_add_co_ci_u32_e64 v2, s1, s11, v2, s1
	s_delay_alu instid0(VALU_DEP_3)
	v_cmp_eq_u32_e64 s1, 0, v8
	v_add_co_u32 v3, s2, v3, s6
	ds_store_b32 v9, v10
	v_add_nc_u32_e32 v9, 4, v9
	v_add_co_ci_u32_e64 v4, s2, s7, v4, s2
	s_or_b32 s12, s1, s12
	s_delay_alu instid0(SALU_CYCLE_1)
	s_and_not1_b32 exec_lo, exec_lo, s12
	s_cbranch_execz .LBB5_9
.LBB5_6:                                ; =>This Inner Loop Header: Depth=1
	v_mov_b32_e32 v10, 0xff800000
	s_and_saveexec_b32 s2, s0
	s_cbranch_execz .LBB5_5
; %bb.7:                                ;   in Loop: Header=BB5_6 Depth=1
	global_load_u8 v10, v[3:4], off
	s_waitcnt vmcnt(0)
	v_cmp_ne_u16_e64 s1, 1, v10
	v_mov_b32_e32 v10, 0xc61c4000
	s_delay_alu instid0(VALU_DEP_2)
	s_and_saveexec_b32 s3, s1
	s_cbranch_execz .LBB5_4
; %bb.8:                                ;   in Loop: Header=BB5_6 Depth=1
	global_load_u16 v10, v[1:2], off
	s_waitcnt vmcnt(0)
	v_cvt_f32_f16_e32 v10, v10
	s_delay_alu instid0(VALU_DEP_1)
	v_mul_f32_e32 v10, s4, v10
	s_branch .LBB5_4
.LBB5_9:
	s_set_inst_prefetch_distance 0x2
	s_or_b32 exec_lo, exec_lo, s12
	ds_load_2addr_b32 v[1:2], v6 offset1:1
.LBB5_10:
	s_or_b32 exec_lo, exec_lo, s5
	v_mbcnt_lo_u32_b32 v3, -1, 0
	s_mov_b32 s10, 0
	s_delay_alu instid0(VALU_DEP_1)
	v_xor_b32_e32 v4, 16, v3
	v_xor_b32_e32 v10, 8, v3
	;; [unrolled: 1-line block ×5, first 2 shown]
	v_cmp_gt_i32_e64 s0, 32, v4
	s_delay_alu instid0(VALU_DEP_1) | instskip(SKIP_1) | instid1(VALU_DEP_2)
	v_cndmask_b32_e64 v4, v3, v4, s0
	v_cmp_gt_i32_e64 s0, 32, v10
	v_lshlrev_b32_e32 v8, 2, v4
	s_delay_alu instid0(VALU_DEP_2)
	v_cndmask_b32_e64 v10, v3, v10, s0
	s_waitcnt lgkmcnt(0)
	ds_bpermute_b32 v4, v8, v1
	ds_bpermute_b32 v9, v8, v2
	v_lshlrev_b32_e32 v10, 2, v10
	s_waitcnt lgkmcnt(1)
	v_cmp_lt_f32_e64 s0, v1, v4
	s_delay_alu instid0(VALU_DEP_1)
	v_cndmask_b32_e64 v4, v1, v4, s0
	s_waitcnt lgkmcnt(0)
	v_cmp_lt_f32_e64 s0, v2, v9
	ds_bpermute_b32 v11, v10, v4
	v_cndmask_b32_e64 v9, v2, v9, s0
	v_cmp_gt_i32_e64 s0, 32, v13
	ds_bpermute_b32 v12, v10, v9
	v_cndmask_b32_e64 v13, v3, v13, s0
	s_delay_alu instid0(VALU_DEP_1) | instskip(SKIP_2) | instid1(VALU_DEP_1)
	v_lshlrev_b32_e32 v13, 2, v13
	s_waitcnt lgkmcnt(1)
	v_cmp_lt_f32_e64 s0, v4, v11
	v_cndmask_b32_e64 v4, v4, v11, s0
	s_waitcnt lgkmcnt(0)
	v_cmp_lt_f32_e64 s0, v9, v12
	ds_bpermute_b32 v11, v13, v4
	v_cndmask_b32_e64 v9, v9, v12, s0
	v_cmp_gt_i32_e64 s0, 32, v14
	ds_bpermute_b32 v12, v13, v9
	v_cndmask_b32_e64 v14, v3, v14, s0
	s_delay_alu instid0(VALU_DEP_1) | instskip(SKIP_2) | instid1(VALU_DEP_1)
	v_lshlrev_b32_e32 v14, 2, v14
	s_waitcnt lgkmcnt(1)
	v_cmp_lt_f32_e64 s0, v4, v11
	;; [unrolled: 12-line block ×3, first 2 shown]
	v_cndmask_b32_e64 v3, v4, v11, s0
	s_waitcnt lgkmcnt(0)
	v_cmp_lt_f32_e64 s0, v9, v12
	ds_bpermute_b32 v4, v15, v3
	v_cndmask_b32_e64 v9, v9, v12, s0
	ds_bpermute_b32 v11, v15, v9
	s_waitcnt lgkmcnt(1)
	v_cmp_lt_f32_e64 s0, v3, v4
	s_delay_alu instid0(VALU_DEP_1) | instskip(SKIP_2) | instid1(VALU_DEP_2)
	v_cndmask_b32_e64 v4, v3, v4, s0
	s_waitcnt lgkmcnt(0)
	v_cmp_lt_f32_e64 s0, v9, v11
	v_sub_f32_e32 v1, v1, v4
	s_delay_alu instid0(VALU_DEP_2) | instskip(NEXT) | instid1(VALU_DEP_1)
	v_cndmask_b32_e64 v3, v9, v11, s0
	v_dual_mul_f32 v9, 0x3fb8aa3b, v1 :: v_dual_sub_f32 v2, v2, v3
	v_cmp_ngt_f32_e64 s0, 0xc2ce8ed0, v1
	s_delay_alu instid0(VALU_DEP_2) | instskip(NEXT) | instid1(VALU_DEP_3)
	v_fma_f32 v12, 0x3fb8aa3b, v1, -v9
	v_mul_f32_e32 v11, 0x3fb8aa3b, v2
	v_rndne_f32_e32 v16, v9
	s_delay_alu instid0(VALU_DEP_3) | instskip(NEXT) | instid1(VALU_DEP_3)
	v_fmac_f32_e32 v12, 0x32a5705f, v1
	v_fma_f32 v17, 0x3fb8aa3b, v2, -v11
	v_rndne_f32_e32 v18, v11
	s_delay_alu instid0(VALU_DEP_4) | instskip(NEXT) | instid1(VALU_DEP_3)
	v_sub_f32_e32 v9, v9, v16
	v_fmac_f32_e32 v17, 0x32a5705f, v2
	s_delay_alu instid0(VALU_DEP_3) | instskip(NEXT) | instid1(VALU_DEP_3)
	v_sub_f32_e32 v11, v11, v18
	v_add_f32_e32 v9, v9, v12
	v_cvt_i32_f32_e32 v12, v16
	v_cvt_i32_f32_e32 v16, v18
	s_delay_alu instid0(VALU_DEP_4) | instskip(NEXT) | instid1(VALU_DEP_4)
	v_add_f32_e32 v11, v11, v17
	v_exp_f32_e32 v9, v9
	s_delay_alu instid0(VALU_DEP_1) | instskip(SKIP_3) | instid1(VALU_DEP_2)
	v_exp_f32_e32 v11, v11
	s_waitcnt_depctr 0xfff
	v_ldexp_f32 v9, v9, v12
	v_ldexp_f32 v11, v11, v16
	v_cndmask_b32_e64 v9, 0, v9, s0
	v_cmp_ngt_f32_e64 s0, 0xc2ce8ed0, v2
	s_delay_alu instid0(VALU_DEP_1) | instskip(SKIP_1) | instid1(VALU_DEP_1)
	v_cndmask_b32_e64 v11, 0, v11, s0
	v_cmp_nlt_f32_e64 s0, 0x42b17218, v1
	v_cndmask_b32_e64 v1, 0x7f800000, v9, s0
	v_cmp_nlt_f32_e64 s0, 0x42b17218, v2
	ds_bpermute_b32 v9, v8, v1
	v_cndmask_b32_e64 v2, 0x7f800000, v11, s0
	ds_bpermute_b32 v8, v8, v2
	ds_store_2addr_b32 v6, v1, v2 offset1:1
	s_waitcnt lgkmcnt(2)
	v_add_f32_e32 v9, v1, v9
	ds_bpermute_b32 v11, v10, v9
	s_waitcnt lgkmcnt(2)
	v_add_f32_e32 v8, v2, v8
	ds_bpermute_b32 v10, v10, v8
	s_waitcnt lgkmcnt(0)
	v_dual_add_f32 v9, v9, v11 :: v_dual_add_f32 v8, v8, v10
	ds_bpermute_b32 v10, v13, v9
	ds_bpermute_b32 v11, v13, v8
	s_waitcnt lgkmcnt(0)
	v_dual_add_f32 v9, v9, v10 :: v_dual_add_f32 v10, v8, v11
	ds_bpermute_b32 v8, v14, v9
	;; [unrolled: 4-line block ×3, first 2 shown]
	ds_bpermute_b32 v11, v15, v9
	s_and_saveexec_b32 s0, vcc_lo
	s_cbranch_execz .LBB5_17
; %bb.11:
	v_ashrrev_i32_e32 v1, 31, v0
	v_cmp_eq_f32_e32 vcc_lo, 0xc61c4000, v4
	s_waitcnt lgkmcnt(1)
	v_add_f32_e32 v4, v8, v10
	s_waitcnt lgkmcnt(0)
	v_add_f32_e32 v8, v9, v11
	v_cmp_gt_i32_e64 s0, s6, v7
	v_lshlrev_b64 v[0:1], 1, v[0:1]
	v_cndmask_b32_e64 v2, 1.0, 0, vcc_lo
	v_cmp_eq_f32_e32 vcc_lo, 0xc61c4000, v3
	s_ashr_i32 s7, s6, 31
	s_mov_b64 s[4:5], 0
	s_lshl_b64 s[2:3], s[6:7], 1
	v_cndmask_b32_e64 v3, 1.0, 0, vcc_lo
	v_add_co_u32 v0, vcc_lo, s8, v0
	v_add_co_ci_u32_e32 v1, vcc_lo, s9, v1, vcc_lo
	s_branch .LBB5_14
.LBB5_12:                               ;   in Loop: Header=BB5_14 Depth=1
	s_or_b32 exec_lo, exec_lo, s6
	global_store_b16 v[0:1], v7, off
.LBB5_13:                               ;   in Loop: Header=BB5_14 Depth=1
	s_or_b32 exec_lo, exec_lo, s1
	s_add_u32 s4, s4, 1
	v_add_co_u32 v0, s1, v0, s2
	v_cmp_eq_u32_e32 vcc_lo, s4, v5
	v_add_co_ci_u32_e64 v1, s1, s3, v1, s1
	v_add_nc_u32_e32 v6, 4, v6
	s_addc_u32 s5, s5, 0
	s_or_b32 s10, vcc_lo, s10
	s_delay_alu instid0(SALU_CYCLE_1)
	s_and_not1_b32 exec_lo, exec_lo, s10
	s_cbranch_execz .LBB5_17
.LBB5_14:                               ; =>This Inner Loop Header: Depth=1
	s_and_saveexec_b32 s1, s0
	s_cbranch_execz .LBB5_13
; %bb.15:                               ;   in Loop: Header=BB5_14 Depth=1
	s_cmp_eq_u32 s4, 1
	s_cselect_b32 vcc_lo, -1, 0
	v_cndmask_b32_e32 v7, v2, v3, vcc_lo
	s_delay_alu instid0(VALU_DEP_1)
	v_cmp_neq_f32_e32 vcc_lo, 0, v7
	v_mov_b32_e32 v7, 0
	s_and_saveexec_b32 s6, vcc_lo
	s_cbranch_execz .LBB5_12
; %bb.16:                               ;   in Loop: Header=BB5_14 Depth=1
	ds_load_b32 v7, v6
	s_cmp_eq_u32 s4, 1
	s_cselect_b32 vcc_lo, -1, 0
	v_cndmask_b32_e32 v9, v4, v8, vcc_lo
	s_waitcnt lgkmcnt(0)
	s_delay_alu instid0(VALU_DEP_1) | instskip(NEXT) | instid1(VALU_DEP_1)
	v_div_scale_f32 v10, null, v9, v9, v7
	v_rcp_f32_e32 v11, v10
	s_waitcnt_depctr 0xfff
	v_fma_f32 v12, -v10, v11, 1.0
	s_delay_alu instid0(VALU_DEP_1) | instskip(SKIP_1) | instid1(VALU_DEP_1)
	v_fmac_f32_e32 v11, v12, v11
	v_div_scale_f32 v12, vcc_lo, v7, v9, v7
	v_mul_f32_e32 v13, v12, v11
	s_delay_alu instid0(VALU_DEP_1) | instskip(NEXT) | instid1(VALU_DEP_1)
	v_fma_f32 v14, -v10, v13, v12
	v_fmac_f32_e32 v13, v14, v11
	s_delay_alu instid0(VALU_DEP_1) | instskip(NEXT) | instid1(VALU_DEP_1)
	v_fma_f32 v10, -v10, v13, v12
	v_div_fmas_f32 v10, v10, v11, v13
	s_delay_alu instid0(VALU_DEP_1) | instskip(NEXT) | instid1(VALU_DEP_1)
	v_div_fixup_f32 v7, v10, v9, v7
	v_cvt_f16_f32_e32 v7, v7
	s_branch .LBB5_12
.LBB5_17:
	s_nop 0
	s_sendmsg sendmsg(MSG_DEALLOC_VGPRS)
	s_endpgm
	.section	.rodata,"a",@progbits
	.p2align	6, 0x0
	.amdhsa_kernel _Z34scaled_masked_softmax_warp_forwardI6__halfS0_fLi5EEvPT0_PKT_PKhT1_iii
		.amdhsa_group_segment_fixed_size 8192
		.amdhsa_private_segment_fixed_size 0
		.amdhsa_kernarg_size 296
		.amdhsa_user_sgpr_count 13
		.amdhsa_user_sgpr_dispatch_ptr 1
		.amdhsa_user_sgpr_queue_ptr 0
		.amdhsa_user_sgpr_kernarg_segment_ptr 1
		.amdhsa_user_sgpr_dispatch_id 0
		.amdhsa_user_sgpr_private_segment_size 0
		.amdhsa_wavefront_size32 1
		.amdhsa_uses_dynamic_stack 0
		.amdhsa_enable_private_segment 0
		.amdhsa_system_sgpr_workgroup_id_x 1
		.amdhsa_system_sgpr_workgroup_id_y 1
		.amdhsa_system_sgpr_workgroup_id_z 1
		.amdhsa_system_sgpr_workgroup_info 0
		.amdhsa_system_vgpr_workitem_id 2
		.amdhsa_next_free_vgpr 19
		.amdhsa_next_free_sgpr 18
		.amdhsa_reserve_vcc 1
		.amdhsa_float_round_mode_32 0
		.amdhsa_float_round_mode_16_64 0
		.amdhsa_float_denorm_mode_32 3
		.amdhsa_float_denorm_mode_16_64 3
		.amdhsa_dx10_clamp 1
		.amdhsa_ieee_mode 1
		.amdhsa_fp16_overflow 0
		.amdhsa_workgroup_processor_mode 1
		.amdhsa_memory_ordered 1
		.amdhsa_forward_progress 0
		.amdhsa_shared_vgpr_count 0
		.amdhsa_exception_fp_ieee_invalid_op 0
		.amdhsa_exception_fp_denorm_src 0
		.amdhsa_exception_fp_ieee_div_zero 0
		.amdhsa_exception_fp_ieee_overflow 0
		.amdhsa_exception_fp_ieee_underflow 0
		.amdhsa_exception_fp_ieee_inexact 0
		.amdhsa_exception_int_div_zero 0
	.end_amdhsa_kernel
	.section	.text._Z34scaled_masked_softmax_warp_forwardI6__halfS0_fLi5EEvPT0_PKT_PKhT1_iii,"axG",@progbits,_Z34scaled_masked_softmax_warp_forwardI6__halfS0_fLi5EEvPT0_PKT_PKhT1_iii,comdat
.Lfunc_end5:
	.size	_Z34scaled_masked_softmax_warp_forwardI6__halfS0_fLi5EEvPT0_PKT_PKhT1_iii, .Lfunc_end5-_Z34scaled_masked_softmax_warp_forwardI6__halfS0_fLi5EEvPT0_PKT_PKhT1_iii
                                        ; -- End function
	.section	.AMDGPU.csdata,"",@progbits
; Kernel info:
; codeLenInByte = 1736
; NumSgprs: 20
; NumVgprs: 19
; ScratchSize: 0
; MemoryBound: 0
; FloatMode: 240
; IeeeMode: 1
; LDSByteSize: 8192 bytes/workgroup (compile time only)
; SGPRBlocks: 2
; VGPRBlocks: 2
; NumSGPRsForWavesPerEU: 20
; NumVGPRsForWavesPerEU: 19
; Occupancy: 16
; WaveLimiterHint : 0
; COMPUTE_PGM_RSRC2:SCRATCH_EN: 0
; COMPUTE_PGM_RSRC2:USER_SGPR: 13
; COMPUTE_PGM_RSRC2:TRAP_HANDLER: 0
; COMPUTE_PGM_RSRC2:TGID_X_EN: 1
; COMPUTE_PGM_RSRC2:TGID_Y_EN: 1
; COMPUTE_PGM_RSRC2:TGID_Z_EN: 1
; COMPUTE_PGM_RSRC2:TIDIG_COMP_CNT: 2
	.section	.text._Z34scaled_masked_softmax_warp_forwardI6__halfS0_fLi6EEvPT0_PKT_PKhT1_iii,"axG",@progbits,_Z34scaled_masked_softmax_warp_forwardI6__halfS0_fLi6EEvPT0_PKT_PKhT1_iii,comdat
	.protected	_Z34scaled_masked_softmax_warp_forwardI6__halfS0_fLi6EEvPT0_PKT_PKhT1_iii ; -- Begin function _Z34scaled_masked_softmax_warp_forwardI6__halfS0_fLi6EEvPT0_PKT_PKhT1_iii
	.globl	_Z34scaled_masked_softmax_warp_forwardI6__halfS0_fLi6EEvPT0_PKT_PKhT1_iii
	.p2align	8
	.type	_Z34scaled_masked_softmax_warp_forwardI6__halfS0_fLi6EEvPT0_PKT_PKhT1_iii,@function
_Z34scaled_masked_softmax_warp_forwardI6__halfS0_fLi6EEvPT0_PKT_PKhT1_iii: ; @_Z34scaled_masked_softmax_warp_forwardI6__halfS0_fLi6EEvPT0_PKT_PKhT1_iii
; %bb.0:
	s_clause 0x2
	s_load_b32 s10, s[2:3], 0x34
	s_load_b128 s[4:7], s[2:3], 0x18
	s_load_b64 s[8:9], s[2:3], 0x28
	s_waitcnt lgkmcnt(0)
	s_lshr_b32 s10, s10, 16
	s_cmp_eq_u32 s7, 1
	s_mov_b32 s7, s13
	s_cbranch_scc1 .LBB6_2
; %bb.1:
	s_mul_i32 s7, s8, s15
	s_delay_alu instid0(SALU_CYCLE_1)
	s_add_i32 s7, s7, s13
.LBB6_2:
	s_load_b64 s[16:17], s[0:1], 0x4
	s_mul_i32 s0, s9, s15
	v_bfe_u32 v1, v0, 10, 10
	s_add_i32 s0, s0, s14
	v_and_b32_e32 v8, 0x3ff, v0
	s_mul_i32 s1, s8, s0
	s_and_b32 s0, 0xffff, s10
	s_add_i32 s1, s1, s13
	s_clause 0x1
	s_load_b128 s[8:11], s[2:3], 0x0
	s_load_b64 s[12:13], s[2:3], 0x10
	v_mad_u64_u32 v[2:3], null, s1, s0, v[1:2]
	v_bfe_u32 v0, v0, 20, 10
	v_add_nc_u32_e32 v9, 32, v8
	s_mov_b32 s14, 0
	s_delay_alu instid0(VALU_DEP_3) | instskip(SKIP_3) | instid1(VALU_DEP_2)
	v_lshlrev_b32_e32 v3, 1, v2
	v_mul_lo_u32 v2, s6, v2
	s_waitcnt lgkmcnt(0)
	s_lshr_b32 s1, s16, 16
	v_sub_nc_u32_e32 v3, s5, v3
	s_mul_i32 s1, s1, s17
	s_delay_alu instid0(SALU_CYCLE_1) | instskip(NEXT) | instid1(VALU_DEP_2)
	v_mul_lo_u32 v4, s1, v8
	v_min_i32_e32 v5, 2, v3
	v_cmp_lt_i32_e32 vcc_lo, 0, v3
	s_delay_alu instid0(VALU_DEP_2) | instskip(NEXT) | instid1(VALU_DEP_4)
	v_max_i32_e32 v6, 1, v5
	v_mad_u32_u24 v4, v1, s17, v4
	s_delay_alu instid0(VALU_DEP_1)
	v_add_lshl_u32 v7, v4, v0, 4
	v_lshl_add_u32 v4, v2, 1, v8
                                        ; implicit-def: $vgpr0
	s_and_saveexec_b32 s5, vcc_lo
	s_cbranch_execz .LBB6_14
; %bb.3:
	v_mad_u64_u32 v[2:3], null, s7, s0, v[1:2]
	s_delay_alu instid0(VALU_DEP_2)
	v_ashrrev_i32_e32 v5, 31, v4
	v_cmp_gt_i32_e64 s0, s6, v8
	v_cmp_gt_i32_e64 s1, s6, v9
	s_ashr_i32 s7, s6, 31
	v_mov_b32_e32 v10, v7
	v_mul_lo_u32 v0, s6, v2
	s_delay_alu instid0(VALU_DEP_1) | instskip(SKIP_2) | instid1(VALU_DEP_3)
	v_lshl_add_u32 v2, v0, 1, v8
	v_lshlrev_b64 v[0:1], 1, v[4:5]
	v_mov_b32_e32 v5, v6
	v_ashrrev_i32_e32 v3, 31, v2
	s_delay_alu instid0(VALU_DEP_3) | instskip(NEXT) | instid1(VALU_DEP_1)
	v_add_co_u32 v0, s2, v0, s10
	v_add_co_ci_u32_e64 v1, s2, s11, v1, s2
	v_add_co_u32 v2, s2, s12, v2
	s_delay_alu instid0(VALU_DEP_1) | instskip(NEXT) | instid1(VALU_DEP_4)
	v_add_co_ci_u32_e64 v3, s2, s13, v3, s2
	v_add_co_u32 v0, s2, v0, 64
	s_delay_alu instid0(VALU_DEP_1) | instskip(NEXT) | instid1(VALU_DEP_4)
	v_add_co_ci_u32_e64 v1, s2, 0, v1, s2
	v_add_co_u32 v2, s2, v2, 32
	s_delay_alu instid0(VALU_DEP_1)
	v_add_co_ci_u32_e64 v3, s2, 0, v3, s2
	s_lshl_b64 s[10:11], s[6:7], 1
	s_branch .LBB6_6
.LBB6_4:                                ;   in Loop: Header=BB6_6 Depth=1
	s_or_b32 exec_lo, exec_lo, s12
.LBB6_5:                                ;   in Loop: Header=BB6_6 Depth=1
	s_delay_alu instid0(SALU_CYCLE_1) | instskip(SKIP_2) | instid1(VALU_DEP_1)
	s_or_b32 exec_lo, exec_lo, s3
	v_add_nc_u32_e32 v5, -1, v5
	v_add_co_u32 v0, s2, v0, s10
	v_add_co_ci_u32_e64 v1, s2, s11, v1, s2
	s_delay_alu instid0(VALU_DEP_3)
	v_cmp_eq_u32_e64 s2, 0, v5
	v_add_co_u32 v2, s3, v2, s6
	ds_store_b32 v10, v11 offset:4
	v_add_nc_u32_e32 v10, 8, v10
	v_add_co_ci_u32_e64 v3, s3, s7, v3, s3
	s_or_b32 s14, s2, s14
	s_delay_alu instid0(SALU_CYCLE_1)
	s_and_not1_b32 exec_lo, exec_lo, s14
	s_cbranch_execz .LBB6_13
.LBB6_6:                                ; =>This Inner Loop Header: Depth=1
	v_dual_mov_b32 v11, 0xff800000 :: v_dual_mov_b32 v12, 0xff800000
	s_and_saveexec_b32 s3, s0
	s_cbranch_execz .LBB6_10
; %bb.7:                                ;   in Loop: Header=BB6_6 Depth=1
	global_load_u8 v12, v[2:3], off offset:-32
	s_waitcnt vmcnt(0)
	v_cmp_ne_u16_e64 s2, 1, v12
	v_mov_b32_e32 v12, 0xc61c4000
	s_delay_alu instid0(VALU_DEP_2)
	s_and_saveexec_b32 s12, s2
	s_cbranch_execz .LBB6_9
; %bb.8:                                ;   in Loop: Header=BB6_6 Depth=1
	global_load_u16 v12, v[0:1], off offset:-64
	s_waitcnt vmcnt(0)
	v_cvt_f32_f16_e32 v12, v12
	s_delay_alu instid0(VALU_DEP_1)
	v_mul_f32_e32 v12, s4, v12
.LBB6_9:                                ;   in Loop: Header=BB6_6 Depth=1
	s_or_b32 exec_lo, exec_lo, s12
.LBB6_10:                               ;   in Loop: Header=BB6_6 Depth=1
	s_delay_alu instid0(SALU_CYCLE_1)
	s_or_b32 exec_lo, exec_lo, s3
	ds_store_b32 v10, v12
	s_and_saveexec_b32 s3, s1
	s_cbranch_execz .LBB6_5
; %bb.11:                               ;   in Loop: Header=BB6_6 Depth=1
	global_load_u8 v11, v[2:3], off
	s_waitcnt vmcnt(0)
	v_cmp_ne_u16_e64 s2, 1, v11
	v_mov_b32_e32 v11, 0xc61c4000
	s_delay_alu instid0(VALU_DEP_2)
	s_and_saveexec_b32 s12, s2
	s_cbranch_execz .LBB6_4
; %bb.12:                               ;   in Loop: Header=BB6_6 Depth=1
	global_load_u16 v11, v[0:1], off
	s_waitcnt vmcnt(0)
	v_cvt_f32_f16_e32 v11, v11
	s_delay_alu instid0(VALU_DEP_1)
	v_mul_f32_e32 v11, s4, v11
	s_branch .LBB6_4
.LBB6_13:
	s_or_b32 exec_lo, exec_lo, s14
	ds_load_b128 v[0:3], v7
.LBB6_14:
	s_or_b32 exec_lo, exec_lo, s5
	v_mbcnt_lo_u32_b32 v5, -1, 0
	s_mov_b32 s3, 0
	s_delay_alu instid0(VALU_DEP_1) | instskip(SKIP_1) | instid1(VALU_DEP_2)
	v_xor_b32_e32 v10, 16, v5
	v_xor_b32_e32 v15, 8, v5
	v_cmp_gt_i32_e64 s0, 32, v10
	s_delay_alu instid0(VALU_DEP_1) | instskip(SKIP_2) | instid1(VALU_DEP_2)
	v_cndmask_b32_e64 v10, v5, v10, s0
	s_waitcnt lgkmcnt(0)
	v_cmp_gt_f32_e64 s0, v0, v1
	v_lshlrev_b32_e32 v12, 2, v10
	s_delay_alu instid0(VALU_DEP_2)
	v_cndmask_b32_e64 v11, v1, v0, s0
	v_cmp_gt_f32_e64 s0, v2, v3
	ds_bpermute_b32 v13, v12, v11
	v_cndmask_b32_e64 v10, v3, v2, s0
	v_cmp_gt_i32_e64 s0, 32, v15
	ds_bpermute_b32 v14, v12, v10
	v_cndmask_b32_e64 v15, v5, v15, s0
	s_delay_alu instid0(VALU_DEP_1) | instskip(SKIP_3) | instid1(VALU_DEP_1)
	v_lshlrev_b32_e32 v18, 2, v15
	v_xor_b32_e32 v15, 4, v5
	s_waitcnt lgkmcnt(1)
	v_cmp_lt_f32_e64 s0, v11, v13
	v_cndmask_b32_e64 v11, v11, v13, s0
	s_waitcnt lgkmcnt(0)
	v_cmp_lt_f32_e64 s0, v10, v14
	ds_bpermute_b32 v13, v18, v11
	v_cndmask_b32_e64 v10, v10, v14, s0
	v_cmp_gt_i32_e64 s0, 32, v15
	ds_bpermute_b32 v14, v18, v10
	v_cndmask_b32_e64 v15, v5, v15, s0
	s_delay_alu instid0(VALU_DEP_1) | instskip(SKIP_3) | instid1(VALU_DEP_1)
	v_lshlrev_b32_e32 v19, 2, v15
	v_xor_b32_e32 v15, 2, v5
	s_waitcnt lgkmcnt(1)
	v_cmp_lt_f32_e64 s0, v11, v13
	v_cndmask_b32_e64 v11, v11, v13, s0
	s_waitcnt lgkmcnt(0)
	v_cmp_lt_f32_e64 s0, v10, v14
	;; [unrolled: 13-line block ×3, first 2 shown]
	ds_bpermute_b32 v13, v20, v11
	v_cndmask_b32_e64 v10, v10, v14, s0
	v_cmp_gt_i32_e64 s0, 32, v15
	ds_bpermute_b32 v14, v20, v10
	v_cndmask_b32_e64 v5, v5, v15, s0
	s_delay_alu instid0(VALU_DEP_1) | instskip(SKIP_2) | instid1(VALU_DEP_1)
	v_lshlrev_b32_e32 v5, 2, v5
	s_waitcnt lgkmcnt(1)
	v_cmp_lt_f32_e64 s0, v11, v13
	v_cndmask_b32_e64 v11, v11, v13, s0
	s_waitcnt lgkmcnt(0)
	v_cmp_lt_f32_e64 s0, v10, v14
	ds_bpermute_b32 v13, v5, v11
	v_cndmask_b32_e64 v10, v10, v14, s0
	s_waitcnt lgkmcnt(0)
	v_cmp_lt_f32_e64 s0, v11, v13
	s_delay_alu instid0(VALU_DEP_1) | instskip(NEXT) | instid1(VALU_DEP_1)
	v_cndmask_b32_e64 v11, v11, v13, s0
	v_sub_f32_e32 v0, v0, v11
	ds_bpermute_b32 v14, v5, v10
	v_sub_f32_e32 v1, v1, v11
	v_mul_f32_e32 v13, 0x3fb8aa3b, v0
	s_delay_alu instid0(VALU_DEP_1) | instskip(SKIP_1) | instid1(VALU_DEP_1)
	v_fma_f32 v17, 0x3fb8aa3b, v0, -v13
	v_rndne_f32_e32 v21, v13
	v_sub_f32_e32 v13, v13, v21
	s_waitcnt lgkmcnt(0)
	v_cmp_lt_f32_e64 s0, v10, v14
	s_delay_alu instid0(VALU_DEP_1) | instskip(SKIP_1) | instid1(VALU_DEP_2)
	v_cndmask_b32_e64 v10, v10, v14, s0
	v_cmp_ngt_f32_e64 s0, 0xc2ce8ed0, v0
	v_sub_f32_e32 v2, v2, v10
	v_dual_sub_f32 v3, v3, v10 :: v_dual_mul_f32 v14, 0x3fb8aa3b, v1
	s_delay_alu instid0(VALU_DEP_1) | instskip(NEXT) | instid1(VALU_DEP_2)
	v_dual_mul_f32 v15, 0x3fb8aa3b, v2 :: v_dual_mul_f32 v16, 0x3fb8aa3b, v3
	v_fma_f32 v22, 0x3fb8aa3b, v1, -v14
	v_rndne_f32_e32 v23, v14
	v_fmac_f32_e32 v17, 0x32a5705f, v0
	s_delay_alu instid0(VALU_DEP_4) | instskip(SKIP_2) | instid1(VALU_DEP_4)
	v_fma_f32 v24, 0x3fb8aa3b, v2, -v15
	v_rndne_f32_e32 v25, v15
	v_fmac_f32_e32 v22, 0x32a5705f, v1
	v_dual_sub_f32 v14, v14, v23 :: v_dual_add_f32 v13, v13, v17
	s_delay_alu instid0(VALU_DEP_4) | instskip(SKIP_2) | instid1(VALU_DEP_4)
	v_fmac_f32_e32 v24, 0x32a5705f, v2
	v_fma_f32 v26, 0x3fb8aa3b, v3, -v16
	v_rndne_f32_e32 v27, v16
	v_dual_sub_f32 v15, v15, v25 :: v_dual_add_f32 v14, v14, v22
	v_exp_f32_e32 v13, v13
	s_delay_alu instid0(VALU_DEP_3) | instskip(NEXT) | instid1(VALU_DEP_2)
	v_fmac_f32_e32 v26, 0x32a5705f, v3
	v_dual_sub_f32 v16, v16, v27 :: v_dual_add_f32 v15, v15, v24
	s_delay_alu instid0(VALU_DEP_3) | instskip(SKIP_2) | instid1(VALU_DEP_3)
	v_exp_f32_e32 v14, v14
	v_cvt_i32_f32_e32 v17, v21
	v_cvt_i32_f32_e32 v21, v23
	v_add_f32_e32 v16, v16, v26
	v_exp_f32_e32 v15, v15
	v_cvt_i32_f32_e32 v22, v25
	s_delay_alu instid0(TRANS32_DEP_3) | instskip(SKIP_2) | instid1(TRANS32_DEP_3)
	v_ldexp_f32 v13, v13, v17
	v_cvt_i32_f32_e32 v23, v27
	v_exp_f32_e32 v16, v16
	v_ldexp_f32 v14, v14, v21
	s_delay_alu instid0(VALU_DEP_3) | instskip(SKIP_1) | instid1(TRANS32_DEP_2)
	v_cndmask_b32_e64 v13, 0, v13, s0
	v_cmp_ngt_f32_e64 s0, 0xc2ce8ed0, v1
	v_ldexp_f32 v15, v15, v22
	s_delay_alu instid0(VALU_DEP_2) | instskip(SKIP_1) | instid1(TRANS32_DEP_1)
	v_cndmask_b32_e64 v17, 0, v14, s0
	v_cmp_ngt_f32_e64 s0, 0xc2ce8ed0, v2
	v_ldexp_f32 v16, v16, v23
	s_delay_alu instid0(VALU_DEP_2) | instskip(SKIP_1) | instid1(VALU_DEP_1)
	v_cndmask_b32_e64 v21, 0, v15, s0
	v_cmp_ngt_f32_e64 s0, 0xc2ce8ed0, v3
	v_cndmask_b32_e64 v22, 0, v16, s0
	v_cmp_nlt_f32_e64 s0, 0x42b17218, v0
	s_delay_alu instid0(VALU_DEP_1) | instskip(SKIP_1) | instid1(VALU_DEP_1)
	v_cndmask_b32_e64 v14, 0x7f800000, v13, s0
	v_cmp_nlt_f32_e64 s0, 0x42b17218, v1
	v_cndmask_b32_e64 v15, 0x7f800000, v17, s0
	v_cmp_nlt_f32_e64 s0, 0x42b17218, v2
	s_delay_alu instid0(VALU_DEP_2) | instskip(NEXT) | instid1(VALU_DEP_2)
	v_add_f32_e32 v0, v14, v15
	v_cndmask_b32_e64 v16, 0x7f800000, v21, s0
	v_cmp_nlt_f32_e64 s0, 0x42b17218, v3
	ds_bpermute_b32 v2, v12, v0
	v_cndmask_b32_e64 v17, 0x7f800000, v22, s0
	s_delay_alu instid0(VALU_DEP_1)
	v_add_f32_e32 v1, v16, v17
	ds_store_b128 v7, v[14:17]
	ds_bpermute_b32 v3, v12, v1
	s_waitcnt lgkmcnt(0)
	v_add_f32_e32 v1, v1, v3
	ds_bpermute_b32 v3, v18, v1
	s_waitcnt lgkmcnt(0)
	v_dual_add_f32 v0, v0, v2 :: v_dual_add_f32 v1, v1, v3
	ds_bpermute_b32 v2, v18, v0
	ds_bpermute_b32 v3, v19, v1
	s_waitcnt lgkmcnt(0)
	v_dual_add_f32 v0, v0, v2 :: v_dual_add_f32 v1, v1, v3
	ds_bpermute_b32 v2, v19, v0
	;; [unrolled: 4-line block ×3, first 2 shown]
	ds_bpermute_b32 v13, v5, v1
	s_waitcnt lgkmcnt(1)
	v_add_f32_e32 v0, v0, v2
	ds_bpermute_b32 v12, v5, v0
	s_and_saveexec_b32 s0, vcc_lo
	s_cbranch_execz .LBB6_24
; %bb.15:
	v_ashrrev_i32_e32 v5, 31, v4
	v_cmp_eq_f32_e32 vcc_lo, 0xc61c4000, v11
	v_cmp_gt_i32_e64 s0, s6, v8
	v_cmp_gt_i32_e64 s1, s6, v9
	s_ashr_i32 s7, s6, 31
	v_lshlrev_b64 v[14:15], 1, v[4:5]
	v_cndmask_b32_e64 v2, 1.0, 0, vcc_lo
	v_cmp_eq_f32_e32 vcc_lo, 0xc61c4000, v10
	s_waitcnt lgkmcnt(0)
	v_dual_add_f32 v4, v0, v12 :: v_dual_add_f32 v5, v1, v13
	s_lshl_b64 s[4:5], s[6:7], 1
	s_mov_b64 s[6:7], 0
	v_cndmask_b32_e64 v3, 1.0, 0, vcc_lo
	v_add_co_u32 v0, vcc_lo, v14, s8
	v_add_co_ci_u32_e32 v1, vcc_lo, s9, v15, vcc_lo
	s_delay_alu instid0(VALU_DEP_2) | instskip(NEXT) | instid1(VALU_DEP_2)
	v_add_co_u32 v0, vcc_lo, v0, 64
	v_add_co_ci_u32_e32 v1, vcc_lo, 0, v1, vcc_lo
	s_branch .LBB6_18
.LBB6_16:                               ;   in Loop: Header=BB6_18 Depth=1
	s_or_b32 exec_lo, exec_lo, s9
	global_store_b16 v[0:1], v9, off
.LBB6_17:                               ;   in Loop: Header=BB6_18 Depth=1
	s_or_b32 exec_lo, exec_lo, s8
	s_add_u32 s6, s6, 1
	v_add_co_u32 v0, s2, v0, s4
	v_cmp_eq_u32_e32 vcc_lo, s6, v6
	v_add_nc_u32_e32 v7, 8, v7
	v_add_co_ci_u32_e64 v1, s2, s5, v1, s2
	s_addc_u32 s7, s7, 0
	s_or_b32 s3, vcc_lo, s3
	s_delay_alu instid0(SALU_CYCLE_1)
	s_and_not1_b32 exec_lo, exec_lo, s3
	s_cbranch_execz .LBB6_24
.LBB6_18:                               ; =>This Inner Loop Header: Depth=1
	s_and_saveexec_b32 s8, s0
	s_cbranch_execz .LBB6_17
; %bb.19:                               ;   in Loop: Header=BB6_18 Depth=1
	s_cmp_eq_u32 s6, 1
	s_cselect_b32 vcc_lo, -1, 0
	v_dual_cndmask_b32 v9, v2, v3 :: v_dual_cndmask_b32 v8, v4, v5
	s_delay_alu instid0(VALU_DEP_1) | instskip(SKIP_1) | instid1(VALU_DEP_2)
	v_cmp_neq_f32_e64 s2, 0, v9
	v_mov_b32_e32 v9, 0
	s_and_saveexec_b32 s9, s2
	s_cbranch_execz .LBB6_21
; %bb.20:                               ;   in Loop: Header=BB6_18 Depth=1
	ds_load_b32 v9, v7
	s_waitcnt lgkmcnt(0)
	v_div_scale_f32 v10, null, v8, v8, v9
	s_delay_alu instid0(VALU_DEP_1) | instskip(SKIP_2) | instid1(VALU_DEP_1)
	v_rcp_f32_e32 v11, v10
	s_waitcnt_depctr 0xfff
	v_fma_f32 v12, -v10, v11, 1.0
	v_fmac_f32_e32 v11, v12, v11
	v_div_scale_f32 v12, vcc_lo, v9, v8, v9
	s_delay_alu instid0(VALU_DEP_1) | instskip(NEXT) | instid1(VALU_DEP_1)
	v_mul_f32_e32 v13, v12, v11
	v_fma_f32 v14, -v10, v13, v12
	s_delay_alu instid0(VALU_DEP_1) | instskip(NEXT) | instid1(VALU_DEP_1)
	v_fmac_f32_e32 v13, v14, v11
	v_fma_f32 v10, -v10, v13, v12
	s_delay_alu instid0(VALU_DEP_1) | instskip(NEXT) | instid1(VALU_DEP_1)
	v_div_fmas_f32 v10, v10, v11, v13
	v_div_fixup_f32 v9, v10, v8, v9
	s_delay_alu instid0(VALU_DEP_1)
	v_cvt_f16_f32_e32 v9, v9
.LBB6_21:                               ;   in Loop: Header=BB6_18 Depth=1
	s_or_b32 exec_lo, exec_lo, s9
	global_store_b16 v[0:1], v9, off offset:-64
	s_and_b32 exec_lo, exec_lo, s1
	s_cbranch_execz .LBB6_17
; %bb.22:                               ;   in Loop: Header=BB6_18 Depth=1
	v_mov_b32_e32 v9, 0
	s_and_saveexec_b32 s9, s2
	s_cbranch_execz .LBB6_16
; %bb.23:                               ;   in Loop: Header=BB6_18 Depth=1
	ds_load_b32 v9, v7 offset:4
	s_waitcnt lgkmcnt(0)
	v_div_scale_f32 v10, null, v8, v8, v9
	s_delay_alu instid0(VALU_DEP_1) | instskip(SKIP_2) | instid1(VALU_DEP_1)
	v_rcp_f32_e32 v11, v10
	s_waitcnt_depctr 0xfff
	v_fma_f32 v12, -v10, v11, 1.0
	v_fmac_f32_e32 v11, v12, v11
	v_div_scale_f32 v12, vcc_lo, v9, v8, v9
	s_delay_alu instid0(VALU_DEP_1) | instskip(NEXT) | instid1(VALU_DEP_1)
	v_mul_f32_e32 v13, v12, v11
	v_fma_f32 v14, -v10, v13, v12
	s_delay_alu instid0(VALU_DEP_1) | instskip(NEXT) | instid1(VALU_DEP_1)
	v_fmac_f32_e32 v13, v14, v11
	v_fma_f32 v10, -v10, v13, v12
	s_delay_alu instid0(VALU_DEP_1) | instskip(NEXT) | instid1(VALU_DEP_1)
	v_div_fmas_f32 v10, v10, v11, v13
	v_div_fixup_f32 v8, v10, v8, v9
	s_delay_alu instid0(VALU_DEP_1)
	v_cvt_f16_f32_e32 v9, v8
	s_branch .LBB6_16
.LBB6_24:
	s_nop 0
	s_sendmsg sendmsg(MSG_DEALLOC_VGPRS)
	s_endpgm
	.section	.rodata,"a",@progbits
	.p2align	6, 0x0
	.amdhsa_kernel _Z34scaled_masked_softmax_warp_forwardI6__halfS0_fLi6EEvPT0_PKT_PKhT1_iii
		.amdhsa_group_segment_fixed_size 16384
		.amdhsa_private_segment_fixed_size 0
		.amdhsa_kernarg_size 296
		.amdhsa_user_sgpr_count 13
		.amdhsa_user_sgpr_dispatch_ptr 1
		.amdhsa_user_sgpr_queue_ptr 0
		.amdhsa_user_sgpr_kernarg_segment_ptr 1
		.amdhsa_user_sgpr_dispatch_id 0
		.amdhsa_user_sgpr_private_segment_size 0
		.amdhsa_wavefront_size32 1
		.amdhsa_uses_dynamic_stack 0
		.amdhsa_enable_private_segment 0
		.amdhsa_system_sgpr_workgroup_id_x 1
		.amdhsa_system_sgpr_workgroup_id_y 1
		.amdhsa_system_sgpr_workgroup_id_z 1
		.amdhsa_system_sgpr_workgroup_info 0
		.amdhsa_system_vgpr_workitem_id 2
		.amdhsa_next_free_vgpr 28
		.amdhsa_next_free_sgpr 18
		.amdhsa_reserve_vcc 1
		.amdhsa_float_round_mode_32 0
		.amdhsa_float_round_mode_16_64 0
		.amdhsa_float_denorm_mode_32 3
		.amdhsa_float_denorm_mode_16_64 3
		.amdhsa_dx10_clamp 1
		.amdhsa_ieee_mode 1
		.amdhsa_fp16_overflow 0
		.amdhsa_workgroup_processor_mode 1
		.amdhsa_memory_ordered 1
		.amdhsa_forward_progress 0
		.amdhsa_shared_vgpr_count 0
		.amdhsa_exception_fp_ieee_invalid_op 0
		.amdhsa_exception_fp_denorm_src 0
		.amdhsa_exception_fp_ieee_div_zero 0
		.amdhsa_exception_fp_ieee_overflow 0
		.amdhsa_exception_fp_ieee_underflow 0
		.amdhsa_exception_fp_ieee_inexact 0
		.amdhsa_exception_int_div_zero 0
	.end_amdhsa_kernel
	.section	.text._Z34scaled_masked_softmax_warp_forwardI6__halfS0_fLi6EEvPT0_PKT_PKhT1_iii,"axG",@progbits,_Z34scaled_masked_softmax_warp_forwardI6__halfS0_fLi6EEvPT0_PKT_PKhT1_iii,comdat
.Lfunc_end6:
	.size	_Z34scaled_masked_softmax_warp_forwardI6__halfS0_fLi6EEvPT0_PKT_PKhT1_iii, .Lfunc_end6-_Z34scaled_masked_softmax_warp_forwardI6__halfS0_fLi6EEvPT0_PKT_PKhT1_iii
                                        ; -- End function
	.section	.AMDGPU.csdata,"",@progbits
; Kernel info:
; codeLenInByte = 2300
; NumSgprs: 20
; NumVgprs: 28
; ScratchSize: 0
; MemoryBound: 0
; FloatMode: 240
; IeeeMode: 1
; LDSByteSize: 16384 bytes/workgroup (compile time only)
; SGPRBlocks: 2
; VGPRBlocks: 3
; NumSGPRsForWavesPerEU: 20
; NumVGPRsForWavesPerEU: 28
; Occupancy: 16
; WaveLimiterHint : 0
; COMPUTE_PGM_RSRC2:SCRATCH_EN: 0
; COMPUTE_PGM_RSRC2:USER_SGPR: 13
; COMPUTE_PGM_RSRC2:TRAP_HANDLER: 0
; COMPUTE_PGM_RSRC2:TGID_X_EN: 1
; COMPUTE_PGM_RSRC2:TGID_Y_EN: 1
; COMPUTE_PGM_RSRC2:TGID_Z_EN: 1
; COMPUTE_PGM_RSRC2:TIDIG_COMP_CNT: 2
	.section	.text._Z34scaled_masked_softmax_warp_forwardI6__halfS0_fLi7EEvPT0_PKT_PKhT1_iii,"axG",@progbits,_Z34scaled_masked_softmax_warp_forwardI6__halfS0_fLi7EEvPT0_PKT_PKhT1_iii,comdat
	.protected	_Z34scaled_masked_softmax_warp_forwardI6__halfS0_fLi7EEvPT0_PKT_PKhT1_iii ; -- Begin function _Z34scaled_masked_softmax_warp_forwardI6__halfS0_fLi7EEvPT0_PKT_PKhT1_iii
	.globl	_Z34scaled_masked_softmax_warp_forwardI6__halfS0_fLi7EEvPT0_PKT_PKhT1_iii
	.p2align	8
	.type	_Z34scaled_masked_softmax_warp_forwardI6__halfS0_fLi7EEvPT0_PKT_PKhT1_iii,@function
_Z34scaled_masked_softmax_warp_forwardI6__halfS0_fLi7EEvPT0_PKT_PKhT1_iii: ; @_Z34scaled_masked_softmax_warp_forwardI6__halfS0_fLi7EEvPT0_PKT_PKhT1_iii
; %bb.0:
	s_clause 0x2
	s_load_b32 s10, s[2:3], 0x34
	s_load_b128 s[4:7], s[2:3], 0x18
	s_load_b64 s[8:9], s[2:3], 0x28
	s_waitcnt lgkmcnt(0)
	s_lshr_b32 s10, s10, 16
	s_cmp_eq_u32 s7, 1
	s_mov_b32 s7, s13
	s_cbranch_scc1 .LBB7_2
; %bb.1:
	s_mul_i32 s7, s8, s15
	s_delay_alu instid0(SALU_CYCLE_1)
	s_add_i32 s7, s7, s13
.LBB7_2:
	s_load_b64 s[16:17], s[0:1], 0x4
	s_mul_i32 s0, s9, s15
	v_bfe_u32 v1, v0, 10, 10
	s_add_i32 s0, s0, s14
	s_mov_b32 s12, 0
	s_mul_i32 s1, s8, s0
	s_and_b32 s0, 0xffff, s10
	s_add_i32 s1, s1, s13
	s_clause 0x1
	s_load_b128 s[8:11], s[2:3], 0x0
	s_load_b64 s[2:3], s[2:3], 0x10
	v_mad_u64_u32 v[2:3], null, s1, s0, v[1:2]
	v_and_b32_e32 v3, 0x3ff, v0
	v_bfe_u32 v0, v0, 20, 10
	s_delay_alu instid0(VALU_DEP_2) | instskip(NEXT) | instid1(VALU_DEP_4)
	v_lshlrev_b32_e32 v12, 2, v3
	v_lshlrev_b32_e32 v4, 1, v2
	v_mul_lo_u32 v2, s6, v2
	s_waitcnt lgkmcnt(0)
	s_lshr_b32 s1, s16, 16
	s_delay_alu instid0(VALU_DEP_2) | instskip(SKIP_1) | instid1(SALU_CYCLE_1)
	v_sub_nc_u32_e32 v4, s5, v4
	s_mul_i32 s1, s1, s17
	v_mul_lo_u32 v5, s1, v3
	s_delay_alu instid0(VALU_DEP_3) | instskip(NEXT) | instid1(VALU_DEP_3)
	v_lshl_add_u32 v8, v2, 1, v12
	v_min_i32_e32 v6, 2, v4
	v_cmp_lt_i32_e32 vcc_lo, 0, v4
                                        ; implicit-def: $vgpr4
	s_delay_alu instid0(VALU_DEP_2) | instskip(SKIP_1) | instid1(VALU_DEP_1)
	v_max_i32_e32 v10, 1, v6
	v_mad_u32_u24 v5, v1, s17, v5
	v_add_lshl_u32 v11, v5, v0, 5
                                        ; implicit-def: $vgpr0
	s_and_saveexec_b32 s5, vcc_lo
	s_cbranch_execz .LBB7_12
; %bb.3:
	v_mad_u64_u32 v[2:3], null, s7, s0, v[1:2]
	v_ashrrev_i32_e32 v9, 31, v8
	v_cmp_le_i32_e64 s0, s6, v12
	v_dual_mov_b32 v0, 0xff800000 :: v_dual_mov_b32 v13, v11
	s_ashr_i32 s7, s6, 31
	s_delay_alu instid0(VALU_DEP_4) | instskip(SKIP_2) | instid1(VALU_DEP_2)
	v_mul_lo_u32 v3, s6, v2
	v_lshlrev_b64 v[1:2], 1, v[8:9]
	v_mov_b32_e32 v9, v10
	v_add_co_u32 v1, s1, v1, s10
	s_delay_alu instid0(VALU_DEP_4) | instskip(NEXT) | instid1(VALU_DEP_4)
	v_lshl_add_u32 v3, v3, 1, v12
	v_add_co_ci_u32_e64 v2, s1, s11, v2, s1
	s_delay_alu instid0(VALU_DEP_3) | instskip(NEXT) | instid1(VALU_DEP_3)
	v_add_co_u32 v4, s1, v1, 4
	v_ashrrev_i32_e32 v7, 31, v3
	s_delay_alu instid0(VALU_DEP_3) | instskip(SKIP_1) | instid1(VALU_DEP_1)
	v_add_co_ci_u32_e64 v5, s1, 0, v2, s1
	v_add_co_u32 v6, s1, s2, v3
	v_add_co_ci_u32_e64 v7, s1, s3, v7, s1
	s_lshl_b64 s[10:11], s[6:7], 1
	s_branch .LBB7_6
.LBB7_4:                                ;   in Loop: Header=BB7_6 Depth=1
	s_or_b32 exec_lo, exec_lo, s3
	s_waitcnt vmcnt(0)
	v_lshrrev_b32_e32 v15, 16, v14
	v_lshrrev_b32_e32 v17, 8, v3
	;; [unrolled: 1-line block ×3, first 2 shown]
	v_cvt_f32_f16_e32 v14, v14
	v_lshrrev_b32_e32 v18, 24, v3
	v_cvt_f32_f16_e32 v3, v15
	v_and_b32_e32 v15, 0xff, v17
	v_cvt_f32_f16_e32 v2, v2
	v_mul_f32_e32 v14, s4, v14
	s_delay_alu instid0(VALU_DEP_4) | instskip(NEXT) | instid1(VALU_DEP_4)
	v_dual_mul_f32 v3, s4, v3 :: v_dual_and_b32 v16, 0xff, v16
	v_cmp_ne_u16_e64 s1, 1, v15
	s_delay_alu instid0(VALU_DEP_4) | instskip(NEXT) | instid1(VALU_DEP_2)
	v_mul_f32_e32 v17, s4, v2
	v_cndmask_b32_e64 v2, 0xc61c4000, v14, s1
	s_delay_alu instid0(VALU_DEP_4) | instskip(NEXT) | instid1(VALU_DEP_1)
	v_cmp_ne_u16_e64 s1, 1, v16
	v_cndmask_b32_e64 v3, 0xc61c4000, v3, s1
	v_cmp_ne_u16_e64 s1, 1, v18
	ds_store_b96 v13, v[1:3]
	v_cndmask_b32_e64 v14, 0xc61c4000, v17, s1
.LBB7_5:                                ;   in Loop: Header=BB7_6 Depth=1
	s_or_b32 exec_lo, exec_lo, s2
	v_add_nc_u32_e32 v9, -1, v9
	v_add_co_u32 v6, s1, v6, s6
	s_delay_alu instid0(VALU_DEP_1) | instskip(NEXT) | instid1(VALU_DEP_3)
	v_add_co_ci_u32_e64 v7, s1, s7, v7, s1
	v_cmp_eq_u32_e64 s1, 0, v9
	v_add_co_u32 v4, s2, v4, s10
	ds_store_b32 v13, v14 offset:12
	v_add_nc_u32_e32 v13, 16, v13
	v_add_co_ci_u32_e64 v5, s2, s11, v5, s2
	s_or_b32 s12, s1, s12
	s_delay_alu instid0(SALU_CYCLE_1)
	s_and_not1_b32 exec_lo, exec_lo, s12
	s_cbranch_execz .LBB7_11
.LBB7_6:                                ; =>This Inner Loop Header: Depth=1
                                        ; implicit-def: $sgpr3
	s_and_saveexec_b32 s1, s0
	s_delay_alu instid0(SALU_CYCLE_1)
	s_xor_b32 s1, exec_lo, s1
	s_cbranch_execz .LBB7_8
; %bb.7:                                ;   in Loop: Header=BB7_6 Depth=1
	v_mov_b32_e32 v1, v0
	v_mov_b32_e32 v2, v0
	s_mov_b32 s3, 0xff800000
	ds_store_b96 v13, v[0:2]
.LBB7_8:                                ;   in Loop: Header=BB7_6 Depth=1
	s_or_saveexec_b32 s2, s1
	v_mov_b32_e32 v14, s3
	s_xor_b32 exec_lo, exec_lo, s2
	s_cbranch_execz .LBB7_5
; %bb.9:                                ;   in Loop: Header=BB7_6 Depth=1
	global_load_b32 v3, v[6:7], off
	s_clause 0x1
	global_load_d16_b16 v2, v[4:5], off offset:2
	global_load_b32 v14, v[4:5], off offset:-2
	s_waitcnt vmcnt(2)
	v_and_b32_e32 v1, 0xff, v3
	s_delay_alu instid0(VALU_DEP_1) | instskip(SKIP_1) | instid1(VALU_DEP_2)
	v_cmp_ne_u16_e64 s1, 1, v1
	v_mov_b32_e32 v1, 0xc61c4000
	s_and_saveexec_b32 s3, s1
	s_cbranch_execz .LBB7_4
; %bb.10:                               ;   in Loop: Header=BB7_6 Depth=1
	global_load_u16 v1, v[4:5], off offset:-4
	s_waitcnt vmcnt(0)
	v_cvt_f32_f16_e32 v1, v1
	s_delay_alu instid0(VALU_DEP_1)
	v_mul_f32_e32 v1, s4, v1
	s_branch .LBB7_4
.LBB7_11:
	s_or_b32 exec_lo, exec_lo, s12
	ds_load_b128 v[0:3], v11
	ds_load_b128 v[4:7], v11 offset:16
.LBB7_12:
	s_or_b32 exec_lo, exec_lo, s5
	s_waitcnt lgkmcnt(1)
	v_cmp_gt_f32_e64 s0, v0, v1
	v_mbcnt_lo_u32_b32 v9, -1, 0
	s_mov_b32 s10, 0
	s_delay_alu instid0(VALU_DEP_2) | instskip(SKIP_3) | instid1(VALU_DEP_2)
	v_cndmask_b32_e64 v0, v1, v0, s0
	s_waitcnt lgkmcnt(0)
	v_cmp_gt_f32_e64 s0, v4, v5
	v_xor_b32_e32 v1, 16, v9
	v_cndmask_b32_e64 v4, v5, v4, s0
	v_cmp_gt_f32_e64 s0, v0, v2
	s_delay_alu instid0(VALU_DEP_1) | instskip(NEXT) | instid1(VALU_DEP_4)
	v_cndmask_b32_e64 v0, v2, v0, s0
	v_cmp_gt_i32_e64 s0, 32, v1
	s_delay_alu instid0(VALU_DEP_1) | instskip(SKIP_1) | instid1(VALU_DEP_1)
	v_cndmask_b32_e64 v1, v9, v1, s0
	v_cmp_gt_f32_e64 s0, v4, v6
	v_cndmask_b32_e64 v2, v6, v4, s0
	v_cmp_gt_f32_e64 s0, v0, v3
	s_delay_alu instid0(VALU_DEP_4) | instskip(SKIP_1) | instid1(VALU_DEP_3)
	v_lshlrev_b32_e32 v6, 2, v1
	v_xor_b32_e32 v4, 8, v9
	v_cndmask_b32_e64 v0, v3, v0, s0
	v_cmp_gt_f32_e64 s0, v2, v7
	s_delay_alu instid0(VALU_DEP_1) | instskip(SKIP_4) | instid1(VALU_DEP_1)
	v_cndmask_b32_e64 v1, v7, v2, s0
	ds_bpermute_b32 v2, v6, v0
	v_cmp_gt_i32_e64 s0, 32, v4
	ds_bpermute_b32 v3, v6, v1
	v_cndmask_b32_e64 v4, v9, v4, s0
	v_lshlrev_b32_e32 v7, 2, v4
	v_xor_b32_e32 v4, 4, v9
	s_waitcnt lgkmcnt(1)
	v_cmp_lt_f32_e64 s0, v0, v2
	s_delay_alu instid0(VALU_DEP_1)
	v_cndmask_b32_e64 v0, v0, v2, s0
	s_waitcnt lgkmcnt(0)
	v_cmp_lt_f32_e64 s0, v1, v3
	ds_bpermute_b32 v2, v7, v0
	v_cndmask_b32_e64 v1, v1, v3, s0
	v_cmp_gt_i32_e64 s0, 32, v4
	ds_bpermute_b32 v3, v7, v1
	v_cndmask_b32_e64 v4, v9, v4, s0
	s_delay_alu instid0(VALU_DEP_1) | instskip(SKIP_3) | instid1(VALU_DEP_1)
	v_lshlrev_b32_e32 v21, 2, v4
	v_xor_b32_e32 v4, 2, v9
	s_waitcnt lgkmcnt(1)
	v_cmp_lt_f32_e64 s0, v0, v2
	v_cndmask_b32_e64 v0, v0, v2, s0
	s_waitcnt lgkmcnt(0)
	v_cmp_lt_f32_e64 s0, v1, v3
	ds_bpermute_b32 v2, v21, v0
	v_cndmask_b32_e64 v1, v1, v3, s0
	v_cmp_gt_i32_e64 s0, 32, v4
	ds_bpermute_b32 v3, v21, v1
	v_cndmask_b32_e64 v4, v9, v4, s0
	s_delay_alu instid0(VALU_DEP_1) | instskip(SKIP_3) | instid1(VALU_DEP_1)
	v_lshlrev_b32_e32 v22, 2, v4
	v_xor_b32_e32 v4, 1, v9
	s_waitcnt lgkmcnt(1)
	v_cmp_lt_f32_e64 s0, v0, v2
	v_cndmask_b32_e64 v0, v0, v2, s0
	s_waitcnt lgkmcnt(0)
	v_cmp_lt_f32_e64 s0, v1, v3
	ds_bpermute_b32 v2, v22, v0
	v_cndmask_b32_e64 v1, v1, v3, s0
	v_cmp_gt_i32_e64 s0, 32, v4
	ds_bpermute_b32 v3, v22, v1
	v_cndmask_b32_e64 v4, v9, v4, s0
	s_delay_alu instid0(VALU_DEP_1) | instskip(SKIP_2) | instid1(VALU_DEP_1)
	v_lshlrev_b32_e32 v9, 2, v4
	s_waitcnt lgkmcnt(1)
	v_cmp_lt_f32_e64 s0, v0, v2
	v_cndmask_b32_e64 v0, v0, v2, s0
	s_waitcnt lgkmcnt(0)
	v_cmp_lt_f32_e64 s0, v1, v3
	s_delay_alu instid0(VALU_DEP_1)
	v_cndmask_b32_e64 v17, v1, v3, s0
	ds_bpermute_b32 v1, v9, v0
	ds_load_b128 v[2:5], v11
	ds_load_b128 v[13:16], v11 offset:16
	ds_bpermute_b32 v18, v9, v17
	s_waitcnt lgkmcnt(3)
	v_cmp_lt_f32_e64 s0, v0, v1
	s_delay_alu instid0(VALU_DEP_1) | instskip(SKIP_2) | instid1(VALU_DEP_2)
	v_cndmask_b32_e64 v1, v0, v1, s0
	s_waitcnt lgkmcnt(0)
	v_cmp_lt_f32_e64 s0, v17, v18
	v_sub_f32_e32 v2, v2, v1
	s_delay_alu instid0(VALU_DEP_2)
	v_cndmask_b32_e64 v0, v17, v18, s0
	v_sub_f32_e32 v3, v3, v1
	v_sub_f32_e32 v4, v4, v1
	;; [unrolled: 1-line block ×3, first 2 shown]
	v_cmp_ngt_f32_e64 s0, 0xc2ce8ed0, v2
	v_sub_f32_e32 v18, v14, v0
	v_sub_f32_e32 v17, v13, v0
	;; [unrolled: 1-line block ×3, first 2 shown]
	v_dual_sub_f32 v20, v16, v0 :: v_dual_mul_f32 v13, 0x3fb8aa3b, v2
	v_dual_mul_f32 v14, 0x3fb8aa3b, v3 :: v_dual_mul_f32 v15, 0x3fb8aa3b, v4
	v_mul_f32_e32 v24, 0x3fb8aa3b, v18
	v_mul_f32_e32 v16, 0x3fb8aa3b, v5
	s_delay_alu instid0(VALU_DEP_4)
	v_fma_f32 v27, 0x3fb8aa3b, v2, -v13
	v_rndne_f32_e32 v28, v13
	v_fma_f32 v29, 0x3fb8aa3b, v3, -v14
	v_rndne_f32_e32 v30, v14
	v_rndne_f32_e32 v38, v24
	v_mul_f32_e32 v25, 0x3fb8aa3b, v19
	v_rndne_f32_e32 v34, v16
	v_fma_f32 v37, 0x3fb8aa3b, v18, -v24
	v_dual_sub_f32 v14, v14, v30 :: v_dual_sub_f32 v13, v13, v28
	v_dual_fmac_f32 v29, 0x32a5705f, v3 :: v_dual_sub_f32 v24, v24, v38
	v_fmac_f32_e32 v27, 0x32a5705f, v2
	v_dual_mul_f32 v23, 0x3fb8aa3b, v17 :: v_dual_mul_f32 v26, 0x3fb8aa3b, v20
	v_fma_f32 v31, 0x3fb8aa3b, v4, -v15
	v_rndne_f32_e32 v32, v15
	v_fma_f32 v33, 0x3fb8aa3b, v5, -v16
	v_sub_f32_e32 v16, v16, v34
	v_dual_add_f32 v14, v14, v29 :: v_dual_add_f32 v13, v13, v27
	v_fma_f32 v41, 0x3fb8aa3b, v20, -v26
	v_rndne_f32_e32 v42, v26
	v_fmac_f32_e32 v31, 0x32a5705f, v4
	v_fmac_f32_e32 v33, 0x32a5705f, v5
	v_sub_f32_e32 v15, v15, v32
	v_exp_f32_e32 v13, v13
	v_fma_f32 v35, 0x3fb8aa3b, v17, -v23
	v_rndne_f32_e32 v36, v23
	v_add_f32_e32 v16, v16, v33
	v_cvt_i32_f32_e32 v28, v28
	v_dual_fmac_f32 v41, 0x32a5705f, v20 :: v_dual_sub_f32 v26, v26, v42
	v_add_f32_e32 v15, v15, v31
	v_exp_f32_e32 v14, v14
	v_cvt_i32_f32_e32 v30, v30
	v_fmac_f32_e32 v35, 0x32a5705f, v17
	v_dual_fmac_f32 v37, 0x32a5705f, v18 :: v_dual_add_f32 v26, v26, v41
	v_sub_f32_e32 v23, v23, v36
	v_exp_f32_e32 v15, v15
	v_ldexp_f32 v13, v13, v28
	s_delay_alu instid0(VALU_DEP_3)
	v_add_f32_e32 v24, v24, v37
	v_fma_f32 v39, 0x3fb8aa3b, v19, -v25
	v_rndne_f32_e32 v40, v25
	v_cvt_i32_f32_e32 v32, v32
	v_add_f32_e32 v23, v23, v35
	v_exp_f32_e32 v16, v16
	v_ldexp_f32 v14, v14, v30
	v_cndmask_b32_e64 v13, 0, v13, s0
	v_cmp_ngt_f32_e64 s0, 0xc2ce8ed0, v3
	v_cvt_i32_f32_e32 v34, v34
	v_fmac_f32_e32 v39, 0x32a5705f, v19
	v_sub_f32_e32 v25, v25, v40
	v_exp_f32_e32 v23, v23
	v_ldexp_f32 v15, v15, v32
	v_cndmask_b32_e64 v14, 0, v14, s0
	v_cmp_ngt_f32_e64 s0, 0xc2ce8ed0, v4
	v_cvt_i32_f32_e32 v36, v36
	v_add_f32_e32 v25, v25, v39
	v_exp_f32_e32 v24, v24
	v_ldexp_f32 v16, v16, v34
	v_cndmask_b32_e64 v15, 0, v15, s0
	v_cmp_ngt_f32_e64 s0, 0xc2ce8ed0, v5
	v_cvt_i32_f32_e32 v38, v38
	v_exp_f32_e32 v25, v25
	v_ldexp_f32 v23, v23, v36
	v_exp_f32_e32 v26, v26
	v_cndmask_b32_e64 v16, 0, v16, s0
	v_cmp_ngt_f32_e64 s0, 0xc2ce8ed0, v17
	v_cvt_i32_f32_e32 v27, v40
	v_ldexp_f32 v24, v24, v38
	v_cvt_i32_f32_e32 v29, v42
	s_delay_alu instid0(VALU_DEP_4)
	v_cndmask_b32_e64 v23, 0, v23, s0
	v_cmp_ngt_f32_e64 s0, 0xc2ce8ed0, v18
	v_ldexp_f32 v25, v25, v27
	s_delay_alu instid0(TRANS32_DEP_1) | instid1(VALU_DEP_4)
	v_ldexp_f32 v26, v26, v29
	s_delay_alu instid0(VALU_DEP_3) | instskip(SKIP_1) | instid1(VALU_DEP_1)
	v_cndmask_b32_e64 v24, 0, v24, s0
	v_cmp_ngt_f32_e64 s0, 0xc2ce8ed0, v19
	v_cndmask_b32_e64 v25, 0, v25, s0
	v_cmp_ngt_f32_e64 s0, 0xc2ce8ed0, v20
	s_delay_alu instid0(VALU_DEP_1) | instskip(SKIP_1) | instid1(VALU_DEP_1)
	v_cndmask_b32_e64 v26, 0, v26, s0
	v_cmp_nlt_f32_e64 s0, 0x42b17218, v2
	v_cndmask_b32_e64 v13, 0x7f800000, v13, s0
	v_cmp_nlt_f32_e64 s0, 0x42b17218, v3
	s_delay_alu instid0(VALU_DEP_1) | instskip(SKIP_1) | instid1(VALU_DEP_2)
	v_cndmask_b32_e64 v14, 0x7f800000, v14, s0
	v_cmp_nlt_f32_e64 s0, 0x42b17218, v17
	v_add_f32_e32 v2, v13, v14
	s_delay_alu instid0(VALU_DEP_2) | instskip(SKIP_1) | instid1(VALU_DEP_1)
	v_cndmask_b32_e64 v17, 0x7f800000, v23, s0
	v_cmp_nlt_f32_e64 s0, 0x42b17218, v18
	v_cndmask_b32_e64 v18, 0x7f800000, v24, s0
	v_cmp_nlt_f32_e64 s0, 0x42b17218, v4
	s_delay_alu instid0(VALU_DEP_2) | instskip(NEXT) | instid1(VALU_DEP_2)
	v_add_f32_e32 v3, v17, v18
	v_cndmask_b32_e64 v15, 0x7f800000, v15, s0
	v_cmp_nlt_f32_e64 s0, 0x42b17218, v19
	s_delay_alu instid0(VALU_DEP_2) | instskip(NEXT) | instid1(VALU_DEP_2)
	v_add_f32_e32 v2, v2, v15
	;; [unrolled: 4-line block ×4, first 2 shown]
	v_cndmask_b32_e64 v20, 0x7f800000, v26, s0
	ds_store_b128 v11, v[13:16]
	ds_store_b128 v11, v[17:20] offset:16
	v_add_f32_e32 v3, v3, v20
	ds_bpermute_b32 v4, v6, v2
	ds_bpermute_b32 v5, v6, v3
	s_waitcnt lgkmcnt(0)
	v_dual_add_f32 v2, v2, v4 :: v_dual_add_f32 v3, v3, v5
	ds_bpermute_b32 v4, v7, v2
	ds_bpermute_b32 v5, v7, v3
	s_waitcnt lgkmcnt(0)
	v_dual_add_f32 v2, v2, v4 :: v_dual_add_f32 v3, v3, v5
	;; [unrolled: 4-line block ×4, first 2 shown]
	ds_bpermute_b32 v6, v9, v4
	ds_bpermute_b32 v7, v9, v5
	s_and_saveexec_b32 s0, vcc_lo
	s_cbranch_execz .LBB7_25
; %bb.13:
	v_ashrrev_i32_e32 v9, 31, v8
	v_cmp_eq_f32_e32 vcc_lo, 0xc61c4000, v1
	s_waitcnt lgkmcnt(0)
	v_dual_add_f32 v4, v4, v6 :: v_dual_add_f32 v5, v5, v7
	v_cmp_gt_i32_e64 s0, s6, v12
	v_lshlrev_b64 v[8:9], 1, v[8:9]
	v_cndmask_b32_e64 v2, 1.0, 0, vcc_lo
	v_cmp_eq_f32_e32 vcc_lo, 0xc61c4000, v0
	s_ashr_i32 s7, s6, 31
	s_mov_b64 s[4:5], 0
	s_lshl_b64 s[2:3], s[6:7], 1
	v_cndmask_b32_e64 v3, 1.0, 0, vcc_lo
	v_add_co_u32 v0, vcc_lo, v8, s8
	v_add_co_ci_u32_e32 v1, vcc_lo, s9, v9, vcc_lo
	s_delay_alu instid0(VALU_DEP_2) | instskip(NEXT) | instid1(VALU_DEP_2)
	v_add_co_u32 v0, vcc_lo, v0, 4
	v_add_co_ci_u32_e32 v1, vcc_lo, 0, v1, vcc_lo
	s_branch .LBB7_16
.LBB7_14:                               ;   in Loop: Header=BB7_16 Depth=1
	s_or_b32 exec_lo, exec_lo, s7
	s_delay_alu instid0(VALU_DEP_1)
	v_perm_b32 v9, v9, v12, 0x5040100
	v_perm_b32 v8, v7, v8, 0x5040100
	global_store_b64 v[0:1], v[8:9], off offset:-4
.LBB7_15:                               ;   in Loop: Header=BB7_16 Depth=1
	s_or_b32 exec_lo, exec_lo, s6
	s_add_u32 s4, s4, 1
	v_add_co_u32 v0, s1, v0, s2
	v_cmp_eq_u32_e32 vcc_lo, s4, v10
	v_add_nc_u32_e32 v11, 16, v11
	v_add_co_ci_u32_e64 v1, s1, s3, v1, s1
	s_addc_u32 s5, s5, 0
	s_or_b32 s10, vcc_lo, s10
	s_delay_alu instid0(SALU_CYCLE_1)
	s_and_not1_b32 exec_lo, exec_lo, s10
	s_cbranch_execz .LBB7_25
.LBB7_16:                               ; =>This Inner Loop Header: Depth=1
	s_and_saveexec_b32 s6, s0
	s_cbranch_execz .LBB7_15
; %bb.17:                               ;   in Loop: Header=BB7_16 Depth=1
	s_cmp_eq_u32 s4, 1
	v_mov_b32_e32 v7, 0
	s_cselect_b32 vcc_lo, -1, 0
	v_cndmask_b32_e32 v8, v2, v3, vcc_lo
	v_cndmask_b32_e32 v6, v4, v5, vcc_lo
	s_delay_alu instid0(VALU_DEP_2) | instskip(SKIP_1) | instid1(VALU_DEP_2)
	v_cmp_neq_f32_e64 s1, 0, v8
	v_mov_b32_e32 v8, 0
	s_and_saveexec_b32 s7, s1
	s_cbranch_execz .LBB7_19
; %bb.18:                               ;   in Loop: Header=BB7_16 Depth=1
	ds_load_b32 v8, v11
	s_waitcnt lgkmcnt(0)
	v_div_scale_f32 v9, null, v6, v6, v8
	s_delay_alu instid0(VALU_DEP_1) | instskip(SKIP_2) | instid1(VALU_DEP_1)
	v_rcp_f32_e32 v12, v9
	s_waitcnt_depctr 0xfff
	v_fma_f32 v13, -v9, v12, 1.0
	v_fmac_f32_e32 v12, v13, v12
	v_div_scale_f32 v13, vcc_lo, v8, v6, v8
	s_delay_alu instid0(VALU_DEP_1) | instskip(NEXT) | instid1(VALU_DEP_1)
	v_mul_f32_e32 v14, v13, v12
	v_fma_f32 v15, -v9, v14, v13
	s_delay_alu instid0(VALU_DEP_1) | instskip(NEXT) | instid1(VALU_DEP_1)
	v_fmac_f32_e32 v14, v15, v12
	v_fma_f32 v9, -v9, v14, v13
	s_delay_alu instid0(VALU_DEP_1) | instskip(NEXT) | instid1(VALU_DEP_1)
	v_div_fmas_f32 v9, v9, v12, v14
	v_div_fixup_f32 v8, v9, v6, v8
	s_delay_alu instid0(VALU_DEP_1)
	v_cvt_f16_f32_e32 v8, v8
.LBB7_19:                               ;   in Loop: Header=BB7_16 Depth=1
	s_or_b32 exec_lo, exec_lo, s7
	s_and_saveexec_b32 s7, s1
	s_cbranch_execz .LBB7_21
; %bb.20:                               ;   in Loop: Header=BB7_16 Depth=1
	ds_load_b32 v7, v11 offset:4
	s_waitcnt lgkmcnt(0)
	v_div_scale_f32 v9, null, v6, v6, v7
	s_delay_alu instid0(VALU_DEP_1) | instskip(SKIP_2) | instid1(VALU_DEP_1)
	v_rcp_f32_e32 v12, v9
	s_waitcnt_depctr 0xfff
	v_fma_f32 v13, -v9, v12, 1.0
	v_fmac_f32_e32 v12, v13, v12
	v_div_scale_f32 v13, vcc_lo, v7, v6, v7
	s_delay_alu instid0(VALU_DEP_1) | instskip(NEXT) | instid1(VALU_DEP_1)
	v_mul_f32_e32 v14, v13, v12
	v_fma_f32 v15, -v9, v14, v13
	s_delay_alu instid0(VALU_DEP_1) | instskip(NEXT) | instid1(VALU_DEP_1)
	v_fmac_f32_e32 v14, v15, v12
	v_fma_f32 v9, -v9, v14, v13
	s_delay_alu instid0(VALU_DEP_1) | instskip(NEXT) | instid1(VALU_DEP_1)
	v_div_fmas_f32 v9, v9, v12, v14
	v_div_fixup_f32 v7, v9, v6, v7
	s_delay_alu instid0(VALU_DEP_1)
	v_cvt_f16_f32_e32 v7, v7
.LBB7_21:                               ;   in Loop: Header=BB7_16 Depth=1
	s_or_b32 exec_lo, exec_lo, s7
	v_dual_mov_b32 v9, 0 :: v_dual_mov_b32 v12, 0
	s_and_saveexec_b32 s7, s1
	s_cbranch_execz .LBB7_23
; %bb.22:                               ;   in Loop: Header=BB7_16 Depth=1
	ds_load_b32 v12, v11 offset:8
	s_waitcnt lgkmcnt(0)
	v_div_scale_f32 v13, null, v6, v6, v12
	s_delay_alu instid0(VALU_DEP_1) | instskip(SKIP_2) | instid1(VALU_DEP_1)
	v_rcp_f32_e32 v14, v13
	s_waitcnt_depctr 0xfff
	v_fma_f32 v15, -v13, v14, 1.0
	v_fmac_f32_e32 v14, v15, v14
	v_div_scale_f32 v15, vcc_lo, v12, v6, v12
	s_delay_alu instid0(VALU_DEP_1) | instskip(NEXT) | instid1(VALU_DEP_1)
	v_mul_f32_e32 v16, v15, v14
	v_fma_f32 v17, -v13, v16, v15
	s_delay_alu instid0(VALU_DEP_1) | instskip(NEXT) | instid1(VALU_DEP_1)
	v_fmac_f32_e32 v16, v17, v14
	v_fma_f32 v13, -v13, v16, v15
	s_delay_alu instid0(VALU_DEP_1) | instskip(NEXT) | instid1(VALU_DEP_1)
	v_div_fmas_f32 v13, v13, v14, v16
	v_div_fixup_f32 v12, v13, v6, v12
	s_delay_alu instid0(VALU_DEP_1)
	v_cvt_f16_f32_e32 v12, v12
.LBB7_23:                               ;   in Loop: Header=BB7_16 Depth=1
	s_or_b32 exec_lo, exec_lo, s7
	s_and_saveexec_b32 s7, s1
	s_cbranch_execz .LBB7_14
; %bb.24:                               ;   in Loop: Header=BB7_16 Depth=1
	ds_load_b32 v9, v11 offset:12
	s_waitcnt lgkmcnt(0)
	v_div_scale_f32 v13, null, v6, v6, v9
	s_delay_alu instid0(VALU_DEP_1) | instskip(SKIP_2) | instid1(VALU_DEP_1)
	v_rcp_f32_e32 v14, v13
	s_waitcnt_depctr 0xfff
	v_fma_f32 v15, -v13, v14, 1.0
	v_fmac_f32_e32 v14, v15, v14
	v_div_scale_f32 v15, vcc_lo, v9, v6, v9
	s_delay_alu instid0(VALU_DEP_1) | instskip(NEXT) | instid1(VALU_DEP_1)
	v_mul_f32_e32 v16, v15, v14
	v_fma_f32 v17, -v13, v16, v15
	s_delay_alu instid0(VALU_DEP_1) | instskip(NEXT) | instid1(VALU_DEP_1)
	v_fmac_f32_e32 v16, v17, v14
	v_fma_f32 v13, -v13, v16, v15
	s_delay_alu instid0(VALU_DEP_1) | instskip(NEXT) | instid1(VALU_DEP_1)
	v_div_fmas_f32 v13, v13, v14, v16
	v_div_fixup_f32 v6, v13, v6, v9
	s_delay_alu instid0(VALU_DEP_1)
	v_cvt_f16_f32_e32 v9, v6
	s_branch .LBB7_14
.LBB7_25:
	s_nop 0
	s_sendmsg sendmsg(MSG_DEALLOC_VGPRS)
	s_endpgm
	.section	.rodata,"a",@progbits
	.p2align	6, 0x0
	.amdhsa_kernel _Z34scaled_masked_softmax_warp_forwardI6__halfS0_fLi7EEvPT0_PKT_PKhT1_iii
		.amdhsa_group_segment_fixed_size 32768
		.amdhsa_private_segment_fixed_size 0
		.amdhsa_kernarg_size 296
		.amdhsa_user_sgpr_count 13
		.amdhsa_user_sgpr_dispatch_ptr 1
		.amdhsa_user_sgpr_queue_ptr 0
		.amdhsa_user_sgpr_kernarg_segment_ptr 1
		.amdhsa_user_sgpr_dispatch_id 0
		.amdhsa_user_sgpr_private_segment_size 0
		.amdhsa_wavefront_size32 1
		.amdhsa_uses_dynamic_stack 0
		.amdhsa_enable_private_segment 0
		.amdhsa_system_sgpr_workgroup_id_x 1
		.amdhsa_system_sgpr_workgroup_id_y 1
		.amdhsa_system_sgpr_workgroup_id_z 1
		.amdhsa_system_sgpr_workgroup_info 0
		.amdhsa_system_vgpr_workitem_id 2
		.amdhsa_next_free_vgpr 43
		.amdhsa_next_free_sgpr 18
		.amdhsa_reserve_vcc 1
		.amdhsa_float_round_mode_32 0
		.amdhsa_float_round_mode_16_64 0
		.amdhsa_float_denorm_mode_32 3
		.amdhsa_float_denorm_mode_16_64 3
		.amdhsa_dx10_clamp 1
		.amdhsa_ieee_mode 1
		.amdhsa_fp16_overflow 0
		.amdhsa_workgroup_processor_mode 1
		.amdhsa_memory_ordered 1
		.amdhsa_forward_progress 0
		.amdhsa_shared_vgpr_count 0
		.amdhsa_exception_fp_ieee_invalid_op 0
		.amdhsa_exception_fp_denorm_src 0
		.amdhsa_exception_fp_ieee_div_zero 0
		.amdhsa_exception_fp_ieee_overflow 0
		.amdhsa_exception_fp_ieee_underflow 0
		.amdhsa_exception_fp_ieee_inexact 0
		.amdhsa_exception_int_div_zero 0
	.end_amdhsa_kernel
	.section	.text._Z34scaled_masked_softmax_warp_forwardI6__halfS0_fLi7EEvPT0_PKT_PKhT1_iii,"axG",@progbits,_Z34scaled_masked_softmax_warp_forwardI6__halfS0_fLi7EEvPT0_PKT_PKhT1_iii,comdat
.Lfunc_end7:
	.size	_Z34scaled_masked_softmax_warp_forwardI6__halfS0_fLi7EEvPT0_PKT_PKhT1_iii, .Lfunc_end7-_Z34scaled_masked_softmax_warp_forwardI6__halfS0_fLi7EEvPT0_PKT_PKhT1_iii
                                        ; -- End function
	.section	.AMDGPU.csdata,"",@progbits
; Kernel info:
; codeLenInByte = 3176
; NumSgprs: 20
; NumVgprs: 43
; ScratchSize: 0
; MemoryBound: 0
; FloatMode: 240
; IeeeMode: 1
; LDSByteSize: 32768 bytes/workgroup (compile time only)
; SGPRBlocks: 2
; VGPRBlocks: 5
; NumSGPRsForWavesPerEU: 20
; NumVGPRsForWavesPerEU: 43
; Occupancy: 16
; WaveLimiterHint : 0
; COMPUTE_PGM_RSRC2:SCRATCH_EN: 0
; COMPUTE_PGM_RSRC2:USER_SGPR: 13
; COMPUTE_PGM_RSRC2:TRAP_HANDLER: 0
; COMPUTE_PGM_RSRC2:TGID_X_EN: 1
; COMPUTE_PGM_RSRC2:TGID_Y_EN: 1
; COMPUTE_PGM_RSRC2:TGID_Z_EN: 1
; COMPUTE_PGM_RSRC2:TIDIG_COMP_CNT: 2
	.section	.text._Z34scaled_masked_softmax_warp_forwardI6__halfS0_fLi8EEvPT0_PKT_PKhT1_iii,"axG",@progbits,_Z34scaled_masked_softmax_warp_forwardI6__halfS0_fLi8EEvPT0_PKT_PKhT1_iii,comdat
	.protected	_Z34scaled_masked_softmax_warp_forwardI6__halfS0_fLi8EEvPT0_PKT_PKhT1_iii ; -- Begin function _Z34scaled_masked_softmax_warp_forwardI6__halfS0_fLi8EEvPT0_PKT_PKhT1_iii
	.globl	_Z34scaled_masked_softmax_warp_forwardI6__halfS0_fLi8EEvPT0_PKT_PKhT1_iii
	.p2align	8
	.type	_Z34scaled_masked_softmax_warp_forwardI6__halfS0_fLi8EEvPT0_PKT_PKhT1_iii,@function
_Z34scaled_masked_softmax_warp_forwardI6__halfS0_fLi8EEvPT0_PKT_PKhT1_iii: ; @_Z34scaled_masked_softmax_warp_forwardI6__halfS0_fLi8EEvPT0_PKT_PKhT1_iii
; %bb.0:
	s_clause 0x2
	s_load_b32 s8, s[0:1], 0x34
	s_load_b128 s[4:7], s[0:1], 0x18
	s_load_b64 s[2:3], s[0:1], 0x28
	s_waitcnt lgkmcnt(0)
	s_lshr_b32 s8, s8, 16
	s_cmp_eq_u32 s7, 1
	s_mov_b32 s7, s13
	s_cbranch_scc1 .LBB8_2
; %bb.1:
	s_mul_i32 s7, s2, s15
	s_delay_alu instid0(SALU_CYCLE_1)
	s_add_i32 s7, s7, s13
.LBB8_2:
	s_mul_i32 s3, s3, s15
	v_bfe_u32 v3, v0, 10, 10
	s_add_i32 s3, s3, s14
	s_and_b32 s12, 0xffff, s8
	s_mul_i32 s2, s2, s3
	v_and_b32_e32 v0, 0x3ff, v0
	s_add_i32 s2, s2, s13
                                        ; implicit-def: $vgpr7
                                        ; implicit-def: $vgpr12
                                        ; implicit-def: $vgpr9
                                        ; implicit-def: $vgpr8
                                        ; implicit-def: $vgpr11
                                        ; implicit-def: $vgpr14
                                        ; implicit-def: $vgpr13
                                        ; implicit-def: $vgpr10
	s_delay_alu instid0(SALU_CYCLE_1) | instskip(NEXT) | instid1(VALU_DEP_2)
	v_mad_u64_u32 v[4:5], null, s2, s12, v[3:4]
	v_lshlrev_b32_e32 v0, 2, v0
	s_clause 0x1
	s_load_b128 s[8:11], s[0:1], 0x0
	s_load_b64 s[2:3], s[0:1], 0x10
	s_delay_alu instid0(VALU_DEP_1) | instskip(SKIP_1) | instid1(VALU_DEP_2)
	v_mad_u64_u32 v[1:2], null, v4, s6, v[0:1]
	v_cmp_gt_i32_e32 vcc_lo, s5, v4
	v_ashrrev_i32_e32 v2, 31, v1
	s_delay_alu instid0(VALU_DEP_1)
	v_lshlrev_b64 v[1:2], 1, v[1:2]
	s_and_saveexec_b32 s5, vcc_lo
	s_cbranch_execz .LBB8_12
; %bb.3:
	v_mad_u64_u32 v[4:5], null, s7, s12, v[3:4]
	s_waitcnt lgkmcnt(0)
	s_delay_alu instid0(VALU_DEP_2) | instskip(SKIP_2) | instid1(VALU_DEP_4)
	v_add_co_u32 v3, s0, s10, v1
	v_dual_mov_b32 v7, 0xff800000 :: v_dual_mov_b32 v12, 0xff800000
	v_dual_mov_b32 v9, 0xff800000 :: v_dual_mov_b32 v8, 0xff800000
	v_mad_u64_u32 v[5:6], null, v4, s6, v[0:1]
	v_add_co_ci_u32_e64 v4, s0, s11, v2, s0
	s_delay_alu instid0(VALU_DEP_2) | instskip(SKIP_1) | instid1(VALU_DEP_1)
	v_ashrrev_i32_e32 v6, 31, v5
	v_add_co_u32 v5, s1, s2, v5
	v_add_co_ci_u32_e64 v6, s1, s3, v6, s1
	s_mov_b32 s1, exec_lo
	v_cmpx_gt_i32_e64 s6, v0
	s_cbranch_execz .LBB8_7
; %bb.4:
	global_load_b32 v9, v[5:6], off
	s_clause 0x1
	global_load_d16_b16 v8, v[3:4], off offset:6
	global_load_b32 v10, v[3:4], off offset:2
	s_waitcnt vmcnt(2)
	v_and_b32_e32 v7, 0xff, v9
	s_delay_alu instid0(VALU_DEP_1) | instskip(SKIP_1) | instid1(VALU_DEP_2)
	v_cmp_ne_u16_e64 s0, 1, v7
	v_mov_b32_e32 v7, 0xc61c4000
	s_and_saveexec_b32 s2, s0
	s_cbranch_execz .LBB8_6
; %bb.5:
	global_load_u16 v7, v[3:4], off
	s_waitcnt vmcnt(0)
	v_cvt_f32_f16_e32 v7, v7
	s_delay_alu instid0(VALU_DEP_1)
	v_mul_f32_e32 v7, s4, v7
.LBB8_6:
	s_or_b32 exec_lo, exec_lo, s2
	s_waitcnt vmcnt(0)
	v_lshrrev_b32_e32 v11, 16, v10
	v_lshrrev_b32_e32 v13, 8, v9
	;; [unrolled: 1-line block ×3, first 2 shown]
	v_cvt_f32_f16_e32 v10, v10
	v_lshrrev_b32_e32 v14, 24, v9
	v_cvt_f32_f16_e32 v9, v11
	v_and_b32_e32 v11, 0xff, v13
	s_delay_alu instid0(VALU_DEP_4) | instskip(SKIP_1) | instid1(VALU_DEP_4)
	v_dual_mul_f32 v10, s4, v10 :: v_dual_and_b32 v13, 0xff, v12
	v_cvt_f32_f16_e32 v8, v8
	v_mul_f32_e32 v9, s4, v9
	s_delay_alu instid0(VALU_DEP_4) | instskip(NEXT) | instid1(VALU_DEP_3)
	v_cmp_ne_u16_e64 s0, 1, v11
	v_mul_f32_e32 v8, s4, v8
	s_delay_alu instid0(VALU_DEP_2) | instskip(SKIP_1) | instid1(VALU_DEP_1)
	v_cndmask_b32_e64 v12, 0xc61c4000, v10, s0
	v_cmp_ne_u16_e64 s0, 1, v13
	v_cndmask_b32_e64 v9, 0xc61c4000, v9, s0
	v_cmp_ne_u16_e64 s0, 1, v14
	s_delay_alu instid0(VALU_DEP_1)
	v_cndmask_b32_e64 v8, 0xc61c4000, v8, s0
.LBB8_7:
	s_or_b32 exec_lo, exec_lo, s1
	v_add_nc_u32_e32 v10, 0x80, v0
	v_dual_mov_b32 v11, 0xff800000 :: v_dual_mov_b32 v14, 0xff800000
	v_mov_b32_e32 v13, 0xff800000
	s_delay_alu instid0(VALU_DEP_3) | instskip(SKIP_1) | instid1(VALU_DEP_2)
	v_cmp_gt_i32_e64 s0, s6, v10
	v_mov_b32_e32 v10, 0xff800000
	s_and_saveexec_b32 s1, s0
	s_cbranch_execz .LBB8_11
; %bb.8:
	global_load_b32 v6, v[5:6], off offset:128
	s_clause 0x1
	global_load_d16_b16 v5, v[3:4], off offset:262
	global_load_b32 v10, v[3:4], off offset:258
	s_waitcnt vmcnt(2)
	v_and_b32_e32 v11, 0xff, v6
	s_delay_alu instid0(VALU_DEP_1) | instskip(SKIP_1) | instid1(VALU_DEP_2)
	v_cmp_ne_u16_e64 s0, 1, v11
	v_mov_b32_e32 v11, 0xc61c4000
	s_and_saveexec_b32 s2, s0
	s_cbranch_execz .LBB8_10
; %bb.9:
	global_load_u16 v3, v[3:4], off offset:256
	s_waitcnt vmcnt(0)
	v_cvt_f32_f16_e32 v3, v3
	s_delay_alu instid0(VALU_DEP_1)
	v_mul_f32_e32 v11, s4, v3
.LBB8_10:
	s_or_b32 exec_lo, exec_lo, s2
	v_lshrrev_b32_e32 v13, 8, v6
	s_waitcnt vmcnt(0)
	v_lshrrev_b32_e32 v3, 16, v10
	v_lshrrev_b32_e32 v4, 16, v6
	v_cvt_f32_f16_e32 v10, v10
	v_lshrrev_b32_e32 v6, 24, v6
	v_and_b32_e32 v13, 0xff, v13
	v_cvt_f32_f16_e32 v3, v3
	v_and_b32_e32 v4, 0xff, v4
	v_mul_f32_e32 v10, s4, v10
	v_cvt_f32_f16_e32 v5, v5
	v_cmp_ne_u16_e64 s0, 1, v13
	v_mul_f32_e32 v3, s4, v3
	s_delay_alu instid0(VALU_DEP_3) | instskip(NEXT) | instid1(VALU_DEP_3)
	v_mul_f32_e32 v5, s4, v5
	v_cndmask_b32_e64 v14, 0xc61c4000, v10, s0
	v_cmp_ne_u16_e64 s0, 1, v4
	s_delay_alu instid0(VALU_DEP_1) | instskip(SKIP_1) | instid1(VALU_DEP_1)
	v_cndmask_b32_e64 v13, 0xc61c4000, v3, s0
	v_cmp_ne_u16_e64 s0, 1, v6
	v_cndmask_b32_e64 v10, 0xc61c4000, v5, s0
.LBB8_11:
	s_or_b32 exec_lo, exec_lo, s1
.LBB8_12:
	s_delay_alu instid0(SALU_CYCLE_1) | instskip(SKIP_2) | instid1(VALU_DEP_2)
	s_or_b32 exec_lo, exec_lo, s5
	v_cmp_gt_f32_e64 s0, v7, v12
	v_mbcnt_lo_u32_b32 v4, -1, 0
	v_cndmask_b32_e64 v3, v12, v7, s0
	s_delay_alu instid0(VALU_DEP_2) | instskip(SKIP_1) | instid1(VALU_DEP_3)
	v_xor_b32_e32 v5, 16, v4
	v_xor_b32_e32 v6, 8, v4
	v_cmp_gt_f32_e64 s0, v3, v9
	s_delay_alu instid0(VALU_DEP_1) | instskip(NEXT) | instid1(VALU_DEP_1)
	v_cndmask_b32_e64 v3, v9, v3, s0
	v_cmp_gt_f32_e64 s0, v3, v8
	s_delay_alu instid0(VALU_DEP_1) | instskip(NEXT) | instid1(VALU_DEP_1)
	v_cndmask_b32_e64 v3, v8, v3, s0
	v_cmp_gt_f32_e64 s0, v3, v11
	s_delay_alu instid0(VALU_DEP_1) | instskip(NEXT) | instid1(VALU_DEP_1)
	v_cndmask_b32_e64 v3, v11, v3, s0
	v_cmp_gt_f32_e64 s0, v3, v14
	s_delay_alu instid0(VALU_DEP_1) | instskip(SKIP_1) | instid1(VALU_DEP_1)
	v_cndmask_b32_e64 v3, v14, v3, s0
	v_cmp_gt_i32_e64 s0, 32, v5
	v_cndmask_b32_e64 v5, v4, v5, s0
	s_delay_alu instid0(VALU_DEP_3) | instskip(NEXT) | instid1(VALU_DEP_2)
	v_cmp_gt_f32_e64 s0, v3, v13
	v_lshlrev_b32_e32 v15, 2, v5
	s_delay_alu instid0(VALU_DEP_2) | instskip(NEXT) | instid1(VALU_DEP_1)
	v_cndmask_b32_e64 v3, v13, v3, s0
	v_cmp_gt_f32_e64 s0, v3, v10
	s_delay_alu instid0(VALU_DEP_1) | instskip(SKIP_3) | instid1(VALU_DEP_1)
	v_cndmask_b32_e64 v3, v10, v3, s0
	v_cmp_gt_i32_e64 s0, 32, v6
	ds_bpermute_b32 v5, v15, v3
	v_cndmask_b32_e64 v6, v4, v6, s0
	v_lshlrev_b32_e32 v16, 2, v6
	v_xor_b32_e32 v6, 4, v4
	s_waitcnt lgkmcnt(0)
	v_cmp_lt_f32_e64 s0, v3, v5
	s_delay_alu instid0(VALU_DEP_1) | instskip(NEXT) | instid1(VALU_DEP_3)
	v_cndmask_b32_e64 v3, v3, v5, s0
	v_cmp_gt_i32_e64 s0, 32, v6
	ds_bpermute_b32 v5, v16, v3
	v_cndmask_b32_e64 v6, v4, v6, s0
	s_delay_alu instid0(VALU_DEP_1) | instskip(SKIP_3) | instid1(VALU_DEP_1)
	v_lshlrev_b32_e32 v17, 2, v6
	v_xor_b32_e32 v6, 2, v4
	s_waitcnt lgkmcnt(0)
	v_cmp_lt_f32_e64 s0, v3, v5
	v_cndmask_b32_e64 v3, v3, v5, s0
	s_delay_alu instid0(VALU_DEP_3) | instskip(SKIP_2) | instid1(VALU_DEP_1)
	v_cmp_gt_i32_e64 s0, 32, v6
	ds_bpermute_b32 v5, v17, v3
	v_cndmask_b32_e64 v6, v4, v6, s0
	v_lshlrev_b32_e32 v18, 2, v6
	v_xor_b32_e32 v6, 1, v4
	s_waitcnt lgkmcnt(0)
	v_cmp_lt_f32_e64 s0, v3, v5
	s_delay_alu instid0(VALU_DEP_1) | instskip(NEXT) | instid1(VALU_DEP_3)
	v_cndmask_b32_e64 v3, v3, v5, s0
	v_cmp_gt_i32_e64 s0, 32, v6
	ds_bpermute_b32 v5, v18, v3
	v_cndmask_b32_e64 v4, v4, v6, s0
	s_delay_alu instid0(VALU_DEP_1) | instskip(SKIP_2) | instid1(VALU_DEP_1)
	v_lshlrev_b32_e32 v19, 2, v4
	s_waitcnt lgkmcnt(0)
	v_cmp_lt_f32_e64 s0, v3, v5
	v_cndmask_b32_e64 v3, v3, v5, s0
	ds_bpermute_b32 v4, v19, v3
	s_waitcnt lgkmcnt(0)
	v_cmp_lt_f32_e64 s0, v3, v4
	s_delay_alu instid0(VALU_DEP_1) | instskip(NEXT) | instid1(VALU_DEP_1)
	v_cndmask_b32_e64 v4, v3, v4, s0
	v_sub_f32_e32 v3, v7, v4
	v_sub_f32_e32 v5, v12, v4
	;; [unrolled: 1-line block ×5, first 2 shown]
	v_mul_f32_e32 v8, 0x3fb8aa3b, v3
	v_dual_sub_f32 v20, v13, v4 :: v_dual_mul_f32 v9, 0x3fb8aa3b, v5
	v_dual_mul_f32 v12, 0x3fb8aa3b, v6 :: v_dual_sub_f32 v11, v11, v4
	s_delay_alu instid0(VALU_DEP_4) | instskip(NEXT) | instid1(VALU_DEP_4)
	v_mul_f32_e32 v22, 0x3fb8aa3b, v14
	v_fma_f32 v25, 0x3fb8aa3b, v3, -v8
	v_rndne_f32_e32 v26, v8
	v_dual_sub_f32 v10, v10, v4 :: v_dual_mul_f32 v13, 0x3fb8aa3b, v7
	v_mul_f32_e32 v23, 0x3fb8aa3b, v20
	v_fma_f32 v27, 0x3fb8aa3b, v5, -v9
	s_delay_alu instid0(VALU_DEP_4)
	v_sub_f32_e32 v8, v8, v26
	v_rndne_f32_e32 v28, v9
	v_rndne_f32_e32 v30, v12
	v_fmac_f32_e32 v25, 0x32a5705f, v3
	v_dual_mul_f32 v21, 0x3fb8aa3b, v11 :: v_dual_mul_f32 v24, 0x3fb8aa3b, v10
	v_fma_f32 v29, 0x3fb8aa3b, v6, -v12
	v_rndne_f32_e32 v36, v22
	v_dual_fmac_f32 v27, 0x32a5705f, v5 :: v_dual_sub_f32 v12, v12, v30
	v_dual_sub_f32 v9, v9, v28 :: v_dual_add_f32 v8, v8, v25
	v_fma_f32 v31, 0x3fb8aa3b, v7, -v13
	v_fma_f32 v35, 0x3fb8aa3b, v14, -v22
	;; [unrolled: 1-line block ×3, first 2 shown]
	v_rndne_f32_e32 v38, v23
	v_rndne_f32_e32 v40, v24
	v_dual_fmac_f32 v29, 0x32a5705f, v6 :: v_dual_sub_f32 v22, v22, v36
	v_add_f32_e32 v9, v9, v27
	v_exp_f32_e32 v8, v8
	v_rndne_f32_e32 v32, v13
	v_fma_f32 v39, 0x3fb8aa3b, v10, -v24
	v_sub_f32_e32 v24, v24, v40
	v_cvt_i32_f32_e32 v26, v26
	v_dual_fmac_f32 v31, 0x32a5705f, v7 :: v_dual_add_f32 v12, v12, v29
	v_fmac_f32_e32 v37, 0x32a5705f, v20
	v_sub_f32_e32 v23, v23, v38
	v_exp_f32_e32 v9, v9
	v_cvt_i32_f32_e32 v28, v28
	v_fmac_f32_e32 v35, 0x32a5705f, v14
	v_sub_f32_e32 v13, v13, v32
	v_add_f32_e32 v23, v23, v37
	v_exp_f32_e32 v12, v12
	v_ldexp_f32 v8, v8, v26
	v_add_f32_e32 v22, v22, v35
	v_cmp_ngt_f32_e64 s0, 0xc2ce8ed0, v3
	v_cvt_i32_f32_e32 v30, v30
	v_add_f32_e32 v13, v13, v31
	v_exp_f32_e32 v23, v23
	v_ldexp_f32 v9, v9, v28
	v_cndmask_b32_e64 v8, 0, v8, s0
	v_cmp_ngt_f32_e64 s0, 0xc2ce8ed0, v5
	v_fma_f32 v33, 0x3fb8aa3b, v11, -v21
	v_rndne_f32_e32 v34, v21
	v_exp_f32_e32 v13, v13
	v_cvt_i32_f32_e32 v25, v38
	v_ldexp_f32 v12, v12, v30
	v_cndmask_b32_e64 v9, 0, v9, s0
	v_cmp_ngt_f32_e64 s0, 0xc2ce8ed0, v6
	v_cvt_i32_f32_e32 v32, v32
	v_fmac_f32_e32 v33, 0x32a5705f, v11
	v_fmac_f32_e32 v39, 0x32a5705f, v10
	v_sub_f32_e32 v21, v21, v34
	v_ldexp_f32 v23, v23, v25
	v_cndmask_b32_e64 v25, 0, v12, s0
	v_cmp_nlt_f32_e64 s0, 0x42b17218, v3
	s_delay_alu instid0(VALU_DEP_4) | instskip(SKIP_2) | instid1(VALU_DEP_4)
	v_dual_add_f32 v24, v24, v39 :: v_dual_add_f32 v21, v21, v33
	v_ldexp_f32 v26, v13, v32
	v_cvt_i32_f32_e32 v34, v34
	v_cndmask_b32_e64 v13, 0x7f800000, v8, s0
	v_cmp_nlt_f32_e64 s0, 0x42b17218, v5
	v_exp_f32_e32 v21, v21
	v_exp_f32_e32 v22, v22
	v_cvt_i32_f32_e32 v36, v36
	v_exp_f32_e32 v24, v24
	v_cndmask_b32_e64 v12, 0x7f800000, v9, s0
	v_cmp_ngt_f32_e64 s0, 0xc2ce8ed0, v7
	v_cvt_i32_f32_e32 v27, v40
	s_delay_alu instid0(VALU_DEP_3) | instskip(NEXT) | instid1(VALU_DEP_3)
	v_add_f32_e32 v5, v13, v12
	v_cndmask_b32_e64 v3, 0, v26, s0
	v_cmp_nlt_f32_e64 s0, 0x42b17218, v6
	v_ldexp_f32 v21, v21, v34
	v_ldexp_f32 v22, v22, v36
	s_delay_alu instid0(VALU_DEP_3) | instskip(SKIP_1) | instid1(VALU_DEP_1)
	v_cndmask_b32_e64 v9, 0x7f800000, v25, s0
	v_cmp_ngt_f32_e64 s0, 0xc2ce8ed0, v11
	v_cndmask_b32_e64 v6, 0, v21, s0
	v_cmp_nlt_f32_e64 s0, 0x42b17218, v7
	s_delay_alu instid0(VALU_DEP_1) | instskip(SKIP_2) | instid1(VALU_DEP_2)
	v_cndmask_b32_e64 v8, 0x7f800000, v3, s0
	v_cmp_ngt_f32_e64 s0, 0xc2ce8ed0, v14
	v_add_f32_e32 v3, v5, v9
	v_cndmask_b32_e64 v5, 0, v22, s0
	v_cmp_nlt_f32_e64 s0, 0x42b17218, v11
	s_delay_alu instid0(VALU_DEP_3) | instskip(NEXT) | instid1(VALU_DEP_2)
	v_add_f32_e32 v3, v3, v8
	v_cndmask_b32_e64 v7, 0x7f800000, v6, s0
	v_cmp_ngt_f32_e64 s0, 0xc2ce8ed0, v20
	s_delay_alu instid0(VALU_DEP_2) | instskip(NEXT) | instid1(VALU_DEP_2)
	v_add_f32_e32 v3, v3, v7
	v_cndmask_b32_e64 v11, 0, v23, s0
	v_cmp_nlt_f32_e64 s0, 0x42b17218, v14
	v_ldexp_f32 v14, v24, v27
	s_delay_alu instid0(VALU_DEP_2) | instskip(SKIP_1) | instid1(VALU_DEP_2)
	v_cndmask_b32_e64 v6, 0x7f800000, v5, s0
	v_cmp_nlt_f32_e64 s0, 0x42b17218, v20
	v_add_f32_e32 v3, v3, v6
	s_delay_alu instid0(VALU_DEP_2) | instskip(SKIP_1) | instid1(VALU_DEP_1)
	v_cndmask_b32_e64 v5, 0x7f800000, v11, s0
	v_cmp_ngt_f32_e64 s0, 0xc2ce8ed0, v10
	v_cndmask_b32_e64 v11, 0, v14, s0
	v_cmp_nlt_f32_e64 s0, 0x42b17218, v10
	s_delay_alu instid0(VALU_DEP_4) | instskip(NEXT) | instid1(VALU_DEP_2)
	v_add_f32_e32 v14, v3, v5
	v_cndmask_b32_e64 v3, 0x7f800000, v11, s0
	v_cmp_gt_i32_e64 s0, s6, v0
	s_delay_alu instid0(VALU_DEP_2) | instskip(NEXT) | instid1(VALU_DEP_2)
	v_add_f32_e32 v10, v14, v3
	s_and_b32 s0, vcc_lo, s0
	ds_bpermute_b32 v11, v15, v10
	s_waitcnt lgkmcnt(0)
	v_add_f32_e32 v10, v10, v11
	ds_bpermute_b32 v11, v16, v10
	s_waitcnt lgkmcnt(0)
	v_add_f32_e32 v10, v10, v11
	;; [unrolled: 3-line block ×4, first 2 shown]
	ds_bpermute_b32 v11, v19, v10
	s_and_saveexec_b32 s1, s0
	s_cbranch_execz .LBB8_31
; %bb.13:
	v_cmp_neq_f32_e64 s0, 0xc61c4000, v4
	s_waitcnt lgkmcnt(0)
	v_dual_add_f32 v4, v10, v11 :: v_dual_mov_b32 v11, 0
	v_mov_b32_e32 v10, 0
	s_delay_alu instid0(VALU_DEP_3)
	s_and_saveexec_b32 s1, s0
	s_cbranch_execz .LBB8_15
; %bb.14:
	s_delay_alu instid0(VALU_DEP_2) | instskip(NEXT) | instid1(VALU_DEP_1)
	v_div_scale_f32 v11, null, v4, v4, v13
	v_rcp_f32_e32 v14, v11
	s_waitcnt_depctr 0xfff
	v_fma_f32 v15, -v11, v14, 1.0
	s_delay_alu instid0(VALU_DEP_1) | instskip(SKIP_1) | instid1(VALU_DEP_1)
	v_fmac_f32_e32 v14, v15, v14
	v_div_scale_f32 v15, vcc_lo, v13, v4, v13
	v_mul_f32_e32 v16, v15, v14
	s_delay_alu instid0(VALU_DEP_1) | instskip(NEXT) | instid1(VALU_DEP_1)
	v_fma_f32 v17, -v11, v16, v15
	v_fmac_f32_e32 v16, v17, v14
	s_delay_alu instid0(VALU_DEP_1) | instskip(NEXT) | instid1(VALU_DEP_1)
	v_fma_f32 v11, -v11, v16, v15
	v_div_fmas_f32 v11, v11, v14, v16
	s_delay_alu instid0(VALU_DEP_1) | instskip(NEXT) | instid1(VALU_DEP_1)
	v_div_fixup_f32 v11, v11, v4, v13
	v_cvt_f16_f32_e32 v11, v11
.LBB8_15:
	s_or_b32 exec_lo, exec_lo, s1
	s_and_saveexec_b32 s1, s0
	s_cbranch_execz .LBB8_17
; %bb.16:
	v_div_scale_f32 v10, null, v4, v4, v12
	s_delay_alu instid0(VALU_DEP_1) | instskip(SKIP_2) | instid1(VALU_DEP_1)
	v_rcp_f32_e32 v13, v10
	s_waitcnt_depctr 0xfff
	v_fma_f32 v14, -v10, v13, 1.0
	v_fmac_f32_e32 v13, v14, v13
	v_div_scale_f32 v14, vcc_lo, v12, v4, v12
	s_delay_alu instid0(VALU_DEP_1) | instskip(NEXT) | instid1(VALU_DEP_1)
	v_mul_f32_e32 v15, v14, v13
	v_fma_f32 v16, -v10, v15, v14
	s_delay_alu instid0(VALU_DEP_1) | instskip(NEXT) | instid1(VALU_DEP_1)
	v_fmac_f32_e32 v15, v16, v13
	v_fma_f32 v10, -v10, v15, v14
	s_delay_alu instid0(VALU_DEP_1) | instskip(NEXT) | instid1(VALU_DEP_1)
	v_div_fmas_f32 v10, v10, v13, v15
	v_div_fixup_f32 v10, v10, v4, v12
	s_delay_alu instid0(VALU_DEP_1)
	v_cvt_f16_f32_e32 v10, v10
.LBB8_17:
	s_or_b32 exec_lo, exec_lo, s1
	v_dual_mov_b32 v12, 0 :: v_dual_mov_b32 v13, 0
	s_and_saveexec_b32 s1, s0
	s_cbranch_execz .LBB8_19
; %bb.18:
	v_div_scale_f32 v13, null, v4, v4, v9
	s_delay_alu instid0(VALU_DEP_1) | instskip(SKIP_2) | instid1(VALU_DEP_1)
	v_rcp_f32_e32 v14, v13
	s_waitcnt_depctr 0xfff
	v_fma_f32 v15, -v13, v14, 1.0
	v_fmac_f32_e32 v14, v15, v14
	v_div_scale_f32 v15, vcc_lo, v9, v4, v9
	s_delay_alu instid0(VALU_DEP_1) | instskip(NEXT) | instid1(VALU_DEP_1)
	v_mul_f32_e32 v16, v15, v14
	v_fma_f32 v17, -v13, v16, v15
	s_delay_alu instid0(VALU_DEP_1) | instskip(NEXT) | instid1(VALU_DEP_1)
	v_fmac_f32_e32 v16, v17, v14
	v_fma_f32 v13, -v13, v16, v15
	s_delay_alu instid0(VALU_DEP_1) | instskip(NEXT) | instid1(VALU_DEP_1)
	v_div_fmas_f32 v13, v13, v14, v16
	v_div_fixup_f32 v9, v13, v4, v9
	s_delay_alu instid0(VALU_DEP_1)
	v_cvt_f16_f32_e32 v13, v9
.LBB8_19:
	s_or_b32 exec_lo, exec_lo, s1
	s_and_saveexec_b32 s1, s0
	s_cbranch_execz .LBB8_21
; %bb.20:
	v_div_scale_f32 v9, null, v4, v4, v8
	s_delay_alu instid0(VALU_DEP_1) | instskip(SKIP_2) | instid1(VALU_DEP_1)
	v_rcp_f32_e32 v12, v9
	s_waitcnt_depctr 0xfff
	v_fma_f32 v14, -v9, v12, 1.0
	v_fmac_f32_e32 v12, v14, v12
	v_div_scale_f32 v14, vcc_lo, v8, v4, v8
	s_delay_alu instid0(VALU_DEP_1) | instskip(NEXT) | instid1(VALU_DEP_1)
	v_mul_f32_e32 v15, v14, v12
	v_fma_f32 v16, -v9, v15, v14
	s_delay_alu instid0(VALU_DEP_1) | instskip(NEXT) | instid1(VALU_DEP_1)
	v_fmac_f32_e32 v15, v16, v12
	v_fma_f32 v9, -v9, v15, v14
	s_delay_alu instid0(VALU_DEP_1) | instskip(NEXT) | instid1(VALU_DEP_1)
	v_div_fmas_f32 v9, v9, v12, v15
	v_div_fixup_f32 v8, v9, v4, v8
	s_delay_alu instid0(VALU_DEP_1)
	v_cvt_f16_f32_e32 v12, v8
.LBB8_21:
	s_or_b32 exec_lo, exec_lo, s1
	v_add_nc_u32_e32 v14, 0x80, v0
	v_add_co_u32 v0, vcc_lo, s8, v1
	v_add_co_ci_u32_e32 v1, vcc_lo, s9, v2, vcc_lo
	v_perm_b32 v9, v12, v13, 0x5040100
	v_perm_b32 v8, v10, v11, 0x5040100
	v_cmp_gt_u32_e32 vcc_lo, s6, v14
	global_store_b64 v[0:1], v[8:9], off
	s_and_b32 exec_lo, exec_lo, vcc_lo
	s_cbranch_execz .LBB8_31
; %bb.22:
	v_mov_b32_e32 v2, 0
	v_mov_b32_e32 v8, 0
	s_and_saveexec_b32 s1, s0
	s_cbranch_execz .LBB8_24
; %bb.23:
	v_div_scale_f32 v8, null, v4, v4, v7
	s_delay_alu instid0(VALU_DEP_1) | instskip(SKIP_2) | instid1(VALU_DEP_1)
	v_rcp_f32_e32 v9, v8
	s_waitcnt_depctr 0xfff
	v_fma_f32 v10, -v8, v9, 1.0
	v_fmac_f32_e32 v9, v10, v9
	v_div_scale_f32 v10, vcc_lo, v7, v4, v7
	s_delay_alu instid0(VALU_DEP_1) | instskip(NEXT) | instid1(VALU_DEP_1)
	v_mul_f32_e32 v11, v10, v9
	v_fma_f32 v12, -v8, v11, v10
	s_delay_alu instid0(VALU_DEP_1) | instskip(NEXT) | instid1(VALU_DEP_1)
	v_fmac_f32_e32 v11, v12, v9
	v_fma_f32 v8, -v8, v11, v10
	s_delay_alu instid0(VALU_DEP_1) | instskip(NEXT) | instid1(VALU_DEP_1)
	v_div_fmas_f32 v8, v8, v9, v11
	v_div_fixup_f32 v7, v8, v4, v7
	s_delay_alu instid0(VALU_DEP_1)
	v_cvt_f16_f32_e32 v8, v7
.LBB8_24:
	s_or_b32 exec_lo, exec_lo, s1
	s_and_saveexec_b32 s1, s0
	s_cbranch_execz .LBB8_26
; %bb.25:
	v_div_scale_f32 v2, null, v4, v4, v6
	s_delay_alu instid0(VALU_DEP_1) | instskip(SKIP_2) | instid1(VALU_DEP_1)
	v_rcp_f32_e32 v7, v2
	s_waitcnt_depctr 0xfff
	v_fma_f32 v9, -v2, v7, 1.0
	v_fmac_f32_e32 v7, v9, v7
	v_div_scale_f32 v9, vcc_lo, v6, v4, v6
	s_delay_alu instid0(VALU_DEP_1) | instskip(NEXT) | instid1(VALU_DEP_1)
	v_mul_f32_e32 v10, v9, v7
	v_fma_f32 v11, -v2, v10, v9
	s_delay_alu instid0(VALU_DEP_1) | instskip(NEXT) | instid1(VALU_DEP_1)
	v_fmac_f32_e32 v10, v11, v7
	v_fma_f32 v2, -v2, v10, v9
	s_delay_alu instid0(VALU_DEP_1) | instskip(NEXT) | instid1(VALU_DEP_1)
	v_div_fmas_f32 v2, v2, v7, v10
	v_div_fixup_f32 v2, v2, v4, v6
	s_delay_alu instid0(VALU_DEP_1)
	v_cvt_f16_f32_e32 v2, v2
.LBB8_26:
	s_or_b32 exec_lo, exec_lo, s1
	v_dual_mov_b32 v6, 0 :: v_dual_mov_b32 v7, 0
	s_and_saveexec_b32 s1, s0
	s_cbranch_execz .LBB8_28
; %bb.27:
	v_div_scale_f32 v7, null, v4, v4, v5
	s_delay_alu instid0(VALU_DEP_1) | instskip(SKIP_2) | instid1(VALU_DEP_1)
	v_rcp_f32_e32 v9, v7
	s_waitcnt_depctr 0xfff
	v_fma_f32 v10, -v7, v9, 1.0
	v_fmac_f32_e32 v9, v10, v9
	v_div_scale_f32 v10, vcc_lo, v5, v4, v5
	s_delay_alu instid0(VALU_DEP_1) | instskip(NEXT) | instid1(VALU_DEP_1)
	v_mul_f32_e32 v11, v10, v9
	v_fma_f32 v12, -v7, v11, v10
	s_delay_alu instid0(VALU_DEP_1) | instskip(NEXT) | instid1(VALU_DEP_1)
	v_fmac_f32_e32 v11, v12, v9
	v_fma_f32 v7, -v7, v11, v10
	s_delay_alu instid0(VALU_DEP_1) | instskip(NEXT) | instid1(VALU_DEP_1)
	v_div_fmas_f32 v7, v7, v9, v11
	v_div_fixup_f32 v5, v7, v4, v5
	s_delay_alu instid0(VALU_DEP_1)
	v_cvt_f16_f32_e32 v7, v5
.LBB8_28:
	s_or_b32 exec_lo, exec_lo, s1
	s_and_saveexec_b32 s1, s0
	s_cbranch_execz .LBB8_30
; %bb.29:
	v_div_scale_f32 v5, null, v4, v4, v3
	s_delay_alu instid0(VALU_DEP_1) | instskip(SKIP_2) | instid1(VALU_DEP_1)
	v_rcp_f32_e32 v6, v5
	s_waitcnt_depctr 0xfff
	v_fma_f32 v9, -v5, v6, 1.0
	v_fmac_f32_e32 v6, v9, v6
	v_div_scale_f32 v9, vcc_lo, v3, v4, v3
	s_delay_alu instid0(VALU_DEP_1) | instskip(NEXT) | instid1(VALU_DEP_1)
	v_mul_f32_e32 v10, v9, v6
	v_fma_f32 v11, -v5, v10, v9
	s_delay_alu instid0(VALU_DEP_1) | instskip(NEXT) | instid1(VALU_DEP_1)
	v_fmac_f32_e32 v10, v11, v6
	v_fma_f32 v5, -v5, v10, v9
	s_delay_alu instid0(VALU_DEP_1) | instskip(NEXT) | instid1(VALU_DEP_1)
	v_div_fmas_f32 v5, v5, v6, v10
	v_div_fixup_f32 v3, v5, v4, v3
	s_delay_alu instid0(VALU_DEP_1)
	v_cvt_f16_f32_e32 v6, v3
.LBB8_30:
	s_or_b32 exec_lo, exec_lo, s1
	s_delay_alu instid0(VALU_DEP_1)
	v_perm_b32 v3, v6, v7, 0x5040100
	v_perm_b32 v2, v2, v8, 0x5040100
	global_store_b64 v[0:1], v[2:3], off offset:256
.LBB8_31:
	s_nop 0
	s_sendmsg sendmsg(MSG_DEALLOC_VGPRS)
	s_endpgm
	.section	.rodata,"a",@progbits
	.p2align	6, 0x0
	.amdhsa_kernel _Z34scaled_masked_softmax_warp_forwardI6__halfS0_fLi8EEvPT0_PKT_PKhT1_iii
		.amdhsa_group_segment_fixed_size 0
		.amdhsa_private_segment_fixed_size 0
		.amdhsa_kernarg_size 296
		.amdhsa_user_sgpr_count 13
		.amdhsa_user_sgpr_dispatch_ptr 0
		.amdhsa_user_sgpr_queue_ptr 0
		.amdhsa_user_sgpr_kernarg_segment_ptr 1
		.amdhsa_user_sgpr_dispatch_id 0
		.amdhsa_user_sgpr_private_segment_size 0
		.amdhsa_wavefront_size32 1
		.amdhsa_uses_dynamic_stack 0
		.amdhsa_enable_private_segment 0
		.amdhsa_system_sgpr_workgroup_id_x 1
		.amdhsa_system_sgpr_workgroup_id_y 1
		.amdhsa_system_sgpr_workgroup_id_z 1
		.amdhsa_system_sgpr_workgroup_info 0
		.amdhsa_system_vgpr_workitem_id 1
		.amdhsa_next_free_vgpr 41
		.amdhsa_next_free_sgpr 16
		.amdhsa_reserve_vcc 1
		.amdhsa_float_round_mode_32 0
		.amdhsa_float_round_mode_16_64 0
		.amdhsa_float_denorm_mode_32 3
		.amdhsa_float_denorm_mode_16_64 3
		.amdhsa_dx10_clamp 1
		.amdhsa_ieee_mode 1
		.amdhsa_fp16_overflow 0
		.amdhsa_workgroup_processor_mode 1
		.amdhsa_memory_ordered 1
		.amdhsa_forward_progress 0
		.amdhsa_shared_vgpr_count 0
		.amdhsa_exception_fp_ieee_invalid_op 0
		.amdhsa_exception_fp_denorm_src 0
		.amdhsa_exception_fp_ieee_div_zero 0
		.amdhsa_exception_fp_ieee_overflow 0
		.amdhsa_exception_fp_ieee_underflow 0
		.amdhsa_exception_fp_ieee_inexact 0
		.amdhsa_exception_int_div_zero 0
	.end_amdhsa_kernel
	.section	.text._Z34scaled_masked_softmax_warp_forwardI6__halfS0_fLi8EEvPT0_PKT_PKhT1_iii,"axG",@progbits,_Z34scaled_masked_softmax_warp_forwardI6__halfS0_fLi8EEvPT0_PKT_PKhT1_iii,comdat
.Lfunc_end8:
	.size	_Z34scaled_masked_softmax_warp_forwardI6__halfS0_fLi8EEvPT0_PKT_PKhT1_iii, .Lfunc_end8-_Z34scaled_masked_softmax_warp_forwardI6__halfS0_fLi8EEvPT0_PKT_PKhT1_iii
                                        ; -- End function
	.section	.AMDGPU.csdata,"",@progbits
; Kernel info:
; codeLenInByte = 3304
; NumSgprs: 18
; NumVgprs: 41
; ScratchSize: 0
; MemoryBound: 0
; FloatMode: 240
; IeeeMode: 1
; LDSByteSize: 0 bytes/workgroup (compile time only)
; SGPRBlocks: 2
; VGPRBlocks: 5
; NumSGPRsForWavesPerEU: 18
; NumVGPRsForWavesPerEU: 41
; Occupancy: 16
; WaveLimiterHint : 0
; COMPUTE_PGM_RSRC2:SCRATCH_EN: 0
; COMPUTE_PGM_RSRC2:USER_SGPR: 13
; COMPUTE_PGM_RSRC2:TRAP_HANDLER: 0
; COMPUTE_PGM_RSRC2:TGID_X_EN: 1
; COMPUTE_PGM_RSRC2:TGID_Y_EN: 1
; COMPUTE_PGM_RSRC2:TGID_Z_EN: 1
; COMPUTE_PGM_RSRC2:TIDIG_COMP_CNT: 1
	.section	.text._Z34scaled_masked_softmax_warp_forwardI6__halfS0_fLi9EEvPT0_PKT_PKhT1_iii,"axG",@progbits,_Z34scaled_masked_softmax_warp_forwardI6__halfS0_fLi9EEvPT0_PKT_PKhT1_iii,comdat
	.protected	_Z34scaled_masked_softmax_warp_forwardI6__halfS0_fLi9EEvPT0_PKT_PKhT1_iii ; -- Begin function _Z34scaled_masked_softmax_warp_forwardI6__halfS0_fLi9EEvPT0_PKT_PKhT1_iii
	.globl	_Z34scaled_masked_softmax_warp_forwardI6__halfS0_fLi9EEvPT0_PKT_PKhT1_iii
	.p2align	8
	.type	_Z34scaled_masked_softmax_warp_forwardI6__halfS0_fLi9EEvPT0_PKT_PKhT1_iii,@function
_Z34scaled_masked_softmax_warp_forwardI6__halfS0_fLi9EEvPT0_PKT_PKhT1_iii: ; @_Z34scaled_masked_softmax_warp_forwardI6__halfS0_fLi9EEvPT0_PKT_PKhT1_iii
; %bb.0:
	s_clause 0x2
	s_load_b32 s8, s[0:1], 0x34
	s_load_b128 s[4:7], s[0:1], 0x18
	s_load_b64 s[2:3], s[0:1], 0x28
	s_waitcnt lgkmcnt(0)
	s_lshr_b32 s8, s8, 16
	s_cmp_eq_u32 s7, 1
	s_mov_b32 s7, s13
	s_cbranch_scc1 .LBB9_2
; %bb.1:
	s_mul_i32 s7, s2, s15
	s_delay_alu instid0(SALU_CYCLE_1)
	s_add_i32 s7, s7, s13
.LBB9_2:
	s_mul_i32 s3, s3, s15
	v_bfe_u32 v3, v0, 10, 10
	s_add_i32 s3, s3, s14
	s_and_b32 s12, 0xffff, s8
	s_mul_i32 s2, s2, s3
	v_and_b32_e32 v0, 0x3ff, v0
	s_add_i32 s2, s2, s13
                                        ; implicit-def: $vgpr10
                                        ; implicit-def: $vgpr15
                                        ; implicit-def: $vgpr12
                                        ; implicit-def: $vgpr11
                                        ; implicit-def: $vgpr14
                                        ; implicit-def: $vgpr19
                                        ; implicit-def: $vgpr16
                                        ; implicit-def: $vgpr13
                                        ; implicit-def: $vgpr18
                                        ; implicit-def: $vgpr23
                                        ; implicit-def: $vgpr20
                                        ; implicit-def: $vgpr17
                                        ; implicit-def: $vgpr22
                                        ; implicit-def: $vgpr25
                                        ; implicit-def: $vgpr24
                                        ; implicit-def: $vgpr21
	s_delay_alu instid0(SALU_CYCLE_1) | instskip(NEXT) | instid1(VALU_DEP_2)
	v_mad_u64_u32 v[4:5], null, s2, s12, v[3:4]
	v_lshlrev_b32_e32 v0, 2, v0
	s_clause 0x1
	s_load_b128 s[8:11], s[0:1], 0x0
	s_load_b64 s[2:3], s[0:1], 0x10
	s_delay_alu instid0(VALU_DEP_1) | instskip(SKIP_1) | instid1(VALU_DEP_2)
	v_mad_u64_u32 v[1:2], null, v4, s6, v[0:1]
	v_cmp_gt_i32_e32 vcc_lo, s5, v4
	v_ashrrev_i32_e32 v2, 31, v1
	s_delay_alu instid0(VALU_DEP_1)
	v_lshlrev_b64 v[1:2], 1, v[1:2]
	s_and_saveexec_b32 s5, vcc_lo
	s_cbranch_execz .LBB9_20
; %bb.3:
	v_mad_u64_u32 v[4:5], null, s7, s12, v[3:4]
	s_waitcnt lgkmcnt(0)
	s_delay_alu instid0(VALU_DEP_2) | instskip(SKIP_2) | instid1(VALU_DEP_4)
	v_add_co_u32 v3, s0, s10, v1
	v_dual_mov_b32 v10, 0xff800000 :: v_dual_mov_b32 v15, 0xff800000
	v_dual_mov_b32 v12, 0xff800000 :: v_dual_mov_b32 v11, 0xff800000
	v_mad_u64_u32 v[5:6], null, v4, s6, v[0:1]
	v_add_co_ci_u32_e64 v4, s0, s11, v2, s0
	s_delay_alu instid0(VALU_DEP_2) | instskip(SKIP_1) | instid1(VALU_DEP_1)
	v_ashrrev_i32_e32 v6, 31, v5
	v_add_co_u32 v5, s1, s2, v5
	v_add_co_ci_u32_e64 v6, s1, s3, v6, s1
	s_mov_b32 s1, exec_lo
	v_cmpx_gt_i32_e64 s6, v0
	s_cbranch_execz .LBB9_7
; %bb.4:
	global_load_b32 v8, v[5:6], off
	s_clause 0x1
	global_load_d16_b16 v7, v[3:4], off offset:6
	global_load_b32 v9, v[3:4], off offset:2
	s_waitcnt vmcnt(2)
	v_and_b32_e32 v10, 0xff, v8
	s_delay_alu instid0(VALU_DEP_1) | instskip(SKIP_1) | instid1(VALU_DEP_2)
	v_cmp_ne_u16_e64 s0, 1, v10
	v_mov_b32_e32 v10, 0xc61c4000
	s_and_saveexec_b32 s2, s0
	s_cbranch_execz .LBB9_6
; %bb.5:
	global_load_u16 v10, v[3:4], off
	s_waitcnt vmcnt(0)
	v_cvt_f32_f16_e32 v10, v10
	s_delay_alu instid0(VALU_DEP_1)
	v_mul_f32_e32 v10, s4, v10
.LBB9_6:
	s_or_b32 exec_lo, exec_lo, s2
	v_lshrrev_b32_e32 v13, 8, v8
	s_waitcnt vmcnt(0)
	v_lshrrev_b32_e32 v11, 16, v9
	v_lshrrev_b32_e32 v12, 16, v8
	v_cvt_f32_f16_e32 v9, v9
	v_lshrrev_b32_e32 v8, 24, v8
	v_and_b32_e32 v13, 0xff, v13
	v_cvt_f32_f16_e32 v11, v11
	s_delay_alu instid0(VALU_DEP_4) | instskip(SKIP_1) | instid1(VALU_DEP_4)
	v_dual_mul_f32 v9, s4, v9 :: v_dual_and_b32 v12, 0xff, v12
	v_cvt_f32_f16_e32 v7, v7
	v_cmp_ne_u16_e64 s0, 1, v13
	s_delay_alu instid0(VALU_DEP_4) | instskip(NEXT) | instid1(VALU_DEP_3)
	v_mul_f32_e32 v11, s4, v11
	v_mul_f32_e32 v7, s4, v7
	s_delay_alu instid0(VALU_DEP_3) | instskip(SKIP_1) | instid1(VALU_DEP_1)
	v_cndmask_b32_e64 v15, 0xc61c4000, v9, s0
	v_cmp_ne_u16_e64 s0, 1, v12
	v_cndmask_b32_e64 v12, 0xc61c4000, v11, s0
	v_cmp_ne_u16_e64 s0, 1, v8
	s_delay_alu instid0(VALU_DEP_1)
	v_cndmask_b32_e64 v11, 0xc61c4000, v7, s0
.LBB9_7:
	s_or_b32 exec_lo, exec_lo, s1
	v_add_nc_u32_e32 v7, 0x80, v0
	v_dual_mov_b32 v14, 0xff800000 :: v_dual_mov_b32 v19, 0xff800000
	v_dual_mov_b32 v16, 0xff800000 :: v_dual_mov_b32 v13, 0xff800000
	s_mov_b32 s1, exec_lo
	s_delay_alu instid0(VALU_DEP_3)
	v_cmpx_gt_i32_e64 s6, v7
	s_cbranch_execz .LBB9_11
; %bb.8:
	global_load_b32 v8, v[5:6], off offset:128
	s_clause 0x1
	global_load_d16_b16 v7, v[3:4], off offset:262
	global_load_b32 v9, v[3:4], off offset:258
	v_mov_b32_e32 v14, 0xc61c4000
	s_mov_b32 s2, exec_lo
	s_waitcnt vmcnt(2)
	v_and_b32_e32 v13, 0xff, v8
	s_delay_alu instid0(VALU_DEP_1)
	v_cmpx_ne_u16_e32 1, v13
	s_cbranch_execz .LBB9_10
; %bb.9:
	global_load_u16 v13, v[3:4], off offset:256
	s_waitcnt vmcnt(0)
	v_cvt_f32_f16_e32 v13, v13
	s_delay_alu instid0(VALU_DEP_1)
	v_mul_f32_e32 v14, s4, v13
.LBB9_10:
	s_or_b32 exec_lo, exec_lo, s2
	v_lshrrev_b32_e32 v17, 8, v8
	s_waitcnt vmcnt(0)
	v_lshrrev_b32_e32 v13, 16, v9
	v_lshrrev_b32_e32 v16, 16, v8
	v_cvt_f32_f16_e32 v9, v9
	v_lshrrev_b32_e32 v8, 24, v8
	v_and_b32_e32 v17, 0xff, v17
	v_cvt_f32_f16_e32 v13, v13
	s_delay_alu instid0(VALU_DEP_4) | instskip(SKIP_1) | instid1(VALU_DEP_4)
	v_dual_mul_f32 v9, s4, v9 :: v_dual_and_b32 v16, 0xff, v16
	v_cvt_f32_f16_e32 v7, v7
	v_cmp_ne_u16_e64 s0, 1, v17
	s_delay_alu instid0(VALU_DEP_4) | instskip(NEXT) | instid1(VALU_DEP_3)
	v_mul_f32_e32 v13, s4, v13
	v_mul_f32_e32 v7, s4, v7
	s_delay_alu instid0(VALU_DEP_3) | instskip(SKIP_1) | instid1(VALU_DEP_1)
	v_cndmask_b32_e64 v19, 0xc61c4000, v9, s0
	v_cmp_ne_u16_e64 s0, 1, v16
	v_cndmask_b32_e64 v16, 0xc61c4000, v13, s0
	v_cmp_ne_u16_e64 s0, 1, v8
	s_delay_alu instid0(VALU_DEP_1)
	v_cndmask_b32_e64 v13, 0xc61c4000, v7, s0
.LBB9_11:
	s_or_b32 exec_lo, exec_lo, s1
	v_add_nc_u32_e32 v7, 0x100, v0
	v_dual_mov_b32 v18, 0xff800000 :: v_dual_mov_b32 v23, 0xff800000
	v_dual_mov_b32 v20, 0xff800000 :: v_dual_mov_b32 v17, 0xff800000
	s_mov_b32 s1, exec_lo
	s_delay_alu instid0(VALU_DEP_3)
	v_cmpx_gt_i32_e64 s6, v7
	s_cbranch_execz .LBB9_15
; %bb.12:
	global_load_b32 v8, v[5:6], off offset:256
	s_clause 0x1
	global_load_d16_b16 v7, v[3:4], off offset:518
	global_load_b32 v9, v[3:4], off offset:514
	v_mov_b32_e32 v18, 0xc61c4000
	s_mov_b32 s2, exec_lo
	s_waitcnt vmcnt(2)
	v_and_b32_e32 v17, 0xff, v8
	s_delay_alu instid0(VALU_DEP_1)
	v_cmpx_ne_u16_e32 1, v17
	s_cbranch_execz .LBB9_14
; %bb.13:
	global_load_u16 v17, v[3:4], off offset:512
	s_waitcnt vmcnt(0)
	v_cvt_f32_f16_e32 v17, v17
	s_delay_alu instid0(VALU_DEP_1)
	v_mul_f32_e32 v18, s4, v17
.LBB9_14:
	s_or_b32 exec_lo, exec_lo, s2
	v_lshrrev_b32_e32 v21, 8, v8
	s_waitcnt vmcnt(0)
	v_lshrrev_b32_e32 v17, 16, v9
	v_lshrrev_b32_e32 v20, 16, v8
	v_cvt_f32_f16_e32 v9, v9
	v_lshrrev_b32_e32 v8, 24, v8
	v_and_b32_e32 v21, 0xff, v21
	v_cvt_f32_f16_e32 v17, v17
	s_delay_alu instid0(VALU_DEP_4) | instskip(SKIP_1) | instid1(VALU_DEP_4)
	v_dual_mul_f32 v9, s4, v9 :: v_dual_and_b32 v20, 0xff, v20
	v_cvt_f32_f16_e32 v7, v7
	v_cmp_ne_u16_e64 s0, 1, v21
	s_delay_alu instid0(VALU_DEP_4) | instskip(NEXT) | instid1(VALU_DEP_3)
	v_mul_f32_e32 v17, s4, v17
	v_mul_f32_e32 v7, s4, v7
	s_delay_alu instid0(VALU_DEP_3) | instskip(SKIP_1) | instid1(VALU_DEP_1)
	v_cndmask_b32_e64 v23, 0xc61c4000, v9, s0
	v_cmp_ne_u16_e64 s0, 1, v20
	v_cndmask_b32_e64 v20, 0xc61c4000, v17, s0
	v_cmp_ne_u16_e64 s0, 1, v8
	s_delay_alu instid0(VALU_DEP_1)
	v_cndmask_b32_e64 v17, 0xc61c4000, v7, s0
.LBB9_15:
	;; [unrolled: 51-line block ×3, first 2 shown]
	s_or_b32 exec_lo, exec_lo, s1
.LBB9_20:
	s_delay_alu instid0(SALU_CYCLE_1) | instskip(SKIP_2) | instid1(VALU_DEP_2)
	s_or_b32 exec_lo, exec_lo, s5
	v_cmp_gt_f32_e64 s0, v10, v15
	v_mbcnt_lo_u32_b32 v5, -1, 0
	v_cndmask_b32_e64 v3, v15, v10, s0
	s_delay_alu instid0(VALU_DEP_2) | instskip(NEXT) | instid1(VALU_DEP_2)
	v_xor_b32_e32 v4, 16, v5
	v_cmp_gt_f32_e64 s0, v3, v12
	s_delay_alu instid0(VALU_DEP_1) | instskip(NEXT) | instid1(VALU_DEP_1)
	v_cndmask_b32_e64 v3, v12, v3, s0
	v_cmp_gt_f32_e64 s0, v3, v11
	s_delay_alu instid0(VALU_DEP_1) | instskip(NEXT) | instid1(VALU_DEP_1)
	v_cndmask_b32_e64 v3, v11, v3, s0
	;; [unrolled: 3-line block ×11, first 2 shown]
	v_cmp_gt_f32_e64 s0, v3, v25
	s_delay_alu instid0(VALU_DEP_1) | instskip(SKIP_1) | instid1(VALU_DEP_1)
	v_cndmask_b32_e64 v3, v25, v3, s0
	v_cmp_gt_i32_e64 s0, 32, v4
	v_cndmask_b32_e64 v4, v5, v4, s0
	s_delay_alu instid0(VALU_DEP_3) | instskip(NEXT) | instid1(VALU_DEP_1)
	v_cmp_gt_f32_e64 s0, v3, v24
	v_cndmask_b32_e64 v6, v24, v3, s0
	s_delay_alu instid0(VALU_DEP_3) | instskip(SKIP_1) | instid1(VALU_DEP_3)
	v_lshlrev_b32_e32 v3, 2, v4
	v_xor_b32_e32 v4, 8, v5
	v_cmp_gt_f32_e64 s0, v6, v21
	s_delay_alu instid0(VALU_DEP_1) | instskip(NEXT) | instid1(VALU_DEP_3)
	v_cndmask_b32_e64 v6, v21, v6, s0
	v_cmp_gt_i32_e64 s0, 32, v4
	ds_bpermute_b32 v7, v3, v6
	v_cndmask_b32_e64 v4, v5, v4, s0
	s_delay_alu instid0(VALU_DEP_1) | instskip(SKIP_2) | instid1(VALU_DEP_1)
	v_lshlrev_b32_e32 v4, 2, v4
	s_waitcnt lgkmcnt(0)
	v_cmp_lt_f32_e64 s0, v6, v7
	v_cndmask_b32_e64 v7, v6, v7, s0
	v_xor_b32_e32 v6, 4, v5
	ds_bpermute_b32 v8, v4, v7
	v_cmp_gt_i32_e64 s0, 32, v6
	s_delay_alu instid0(VALU_DEP_1) | instskip(NEXT) | instid1(VALU_DEP_1)
	v_cndmask_b32_e64 v6, v5, v6, s0
	v_lshlrev_b32_e32 v6, 2, v6
	s_waitcnt lgkmcnt(0)
	v_cmp_lt_f32_e64 s0, v7, v8
	s_delay_alu instid0(VALU_DEP_1) | instskip(SKIP_3) | instid1(VALU_DEP_1)
	v_cndmask_b32_e64 v8, v7, v8, s0
	v_xor_b32_e32 v7, 2, v5
	ds_bpermute_b32 v9, v6, v8
	v_cmp_gt_i32_e64 s0, 32, v7
	v_cndmask_b32_e64 v7, v5, v7, s0
	s_delay_alu instid0(VALU_DEP_1) | instskip(SKIP_2) | instid1(VALU_DEP_1)
	v_lshlrev_b32_e32 v7, 2, v7
	s_waitcnt lgkmcnt(0)
	v_cmp_lt_f32_e64 s0, v8, v9
	v_cndmask_b32_e64 v8, v8, v9, s0
	v_xor_b32_e32 v9, 1, v5
	ds_bpermute_b32 v26, v7, v8
	v_cmp_gt_i32_e64 s0, 32, v9
	s_delay_alu instid0(VALU_DEP_1) | instskip(NEXT) | instid1(VALU_DEP_1)
	v_cndmask_b32_e64 v5, v5, v9, s0
	v_lshlrev_b32_e32 v9, 2, v5
	s_waitcnt lgkmcnt(0)
	v_cmp_lt_f32_e64 s0, v8, v26
	s_delay_alu instid0(VALU_DEP_1) | instskip(SKIP_3) | instid1(VALU_DEP_1)
	v_cndmask_b32_e64 v5, v8, v26, s0
	ds_bpermute_b32 v8, v9, v5
	s_waitcnt lgkmcnt(0)
	v_cmp_lt_f32_e64 s0, v5, v8
	v_cndmask_b32_e64 v8, v5, v8, s0
	s_delay_alu instid0(VALU_DEP_1)
	v_sub_f32_e32 v12, v12, v8
	v_sub_f32_e32 v5, v10, v8
	;; [unrolled: 1-line block ×6, first 2 shown]
	v_mul_f32_e32 v17, 0x3fb8aa3b, v5
	v_sub_f32_e32 v11, v11, v8
	v_sub_f32_e32 v27, v23, v8
	v_dual_sub_f32 v13, v13, v8 :: v_dual_mul_f32 v38, 0x3fb8aa3b, v25
	s_delay_alu instid0(VALU_DEP_4)
	v_fma_f32 v41, 0x3fb8aa3b, v5, -v17
	v_sub_f32_e32 v30, v22, v8
	v_mul_f32_e32 v22, 0x3fb8aa3b, v15
	v_rndne_f32_e32 v42, v17
	v_mul_f32_e32 v34, 0x3fb8aa3b, v27
	v_dual_fmac_f32 v41, 0x32a5705f, v5 :: v_dual_sub_f32 v26, v18, v8
	v_mul_f32_e32 v37, 0x3fb8aa3b, v30
	v_mul_f32_e32 v18, 0x3fb8aa3b, v10
	v_sub_f32_e32 v14, v14, v8
	v_rndne_f32_e32 v60, v34
	v_mul_f32_e32 v33, 0x3fb8aa3b, v26
	v_sub_f32_e32 v17, v17, v42
	v_fma_f32 v43, 0x3fb8aa3b, v10, -v18
	v_rndne_f32_e32 v44, v18
	v_sub_f32_e32 v32, v21, v8
	v_dual_sub_f32 v16, v16, v8 :: v_dual_mul_f32 v21, 0x3fb8aa3b, v14
	s_delay_alu instid0(VALU_DEP_3) | instskip(SKIP_1) | instid1(VALU_DEP_4)
	v_dual_fmac_f32 v43, 0x32a5705f, v10 :: v_dual_sub_f32 v18, v18, v44
	v_sub_f32_e32 v31, v24, v8
	v_mul_f32_e32 v40, 0x3fb8aa3b, v32
	v_mul_f32_e32 v24, 0x3fb8aa3b, v13
	v_fma_f32 v59, 0x3fb8aa3b, v27, -v34
	v_add_f32_e32 v18, v18, v43
	v_dual_sub_f32 v28, v20, v8 :: v_dual_mul_f32 v39, 0x3fb8aa3b, v31
	v_mul_f32_e32 v20, 0x3fb8aa3b, v11
	v_fma_f32 v51, 0x3fb8aa3b, v15, -v22
	v_add_f32_e32 v17, v17, v41
	v_fma_f32 v49, 0x3fb8aa3b, v14, -v21
	v_rndne_f32_e32 v52, v22
	v_fma_f32 v47, 0x3fb8aa3b, v11, -v20
	v_rndne_f32_e32 v48, v20
	v_dual_fmac_f32 v51, 0x32a5705f, v15 :: v_dual_sub_f32 v34, v34, v60
	v_fmac_f32_e32 v59, 0x32a5705f, v27
	s_delay_alu instid0(VALU_DEP_3)
	v_dual_fmac_f32 v47, 0x32a5705f, v11 :: v_dual_sub_f32 v20, v20, v48
	v_mul_f32_e32 v19, 0x3fb8aa3b, v12
	v_exp_f32_e32 v17, v17
	v_mul_f32_e32 v36, 0x3fb8aa3b, v29
	v_rndne_f32_e32 v50, v21
	v_add_f32_e32 v20, v20, v47
	v_fma_f32 v45, 0x3fb8aa3b, v12, -v19
	v_rndne_f32_e32 v46, v19
	v_fma_f32 v55, 0x3fb8aa3b, v13, -v24
	v_rndne_f32_e32 v56, v24
	v_cvt_i32_f32_e32 v42, v42
	v_dual_fmac_f32 v45, 0x32a5705f, v12 :: v_dual_add_f32 v34, v34, v59
	v_sub_f32_e32 v19, v19, v46
	v_dual_fmac_f32 v49, 0x32a5705f, v14 :: v_dual_sub_f32 v22, v22, v52
	v_mul_f32_e32 v23, 0x3fb8aa3b, v16
	v_exp_f32_e32 v18, v18
	s_delay_alu instid0(VALU_DEP_3)
	v_add_f32_e32 v19, v19, v45
	v_fma_f32 v63, 0x3fb8aa3b, v29, -v36
	v_add_f32_e32 v22, v22, v51
	v_fma_f32 v53, 0x3fb8aa3b, v16, -v23
	v_rndne_f32_e32 v54, v23
	v_rndne_f32_e32 v64, v36
	;; [unrolled: 1-line block ×3, first 2 shown]
	v_cvt_i32_f32_e32 v44, v44
	v_dual_sub_f32 v21, v21, v50 :: v_dual_sub_f32 v24, v24, v56
	v_fmac_f32_e32 v55, 0x32a5705f, v13
	v_exp_f32_e32 v19, v19
	v_ldexp_f32 v17, v17, v42
	v_cmp_ngt_f32_e64 s0, 0xc2ce8ed0, v5
	v_fma_f32 v67, 0x3fb8aa3b, v25, -v38
	v_sub_f32_e32 v38, v38, v68
	v_dual_mul_f32 v35, 0x3fb8aa3b, v28 :: v_dual_add_f32 v24, v24, v55
	v_cvt_i32_f32_e32 v46, v46
	v_dual_sub_f32 v23, v23, v54 :: v_dual_sub_f32 v36, v36, v64
	v_fmac_f32_e32 v63, 0x32a5705f, v29
	v_fmac_f32_e32 v53, 0x32a5705f, v16
	v_ldexp_f32 v18, v18, v44
	v_cndmask_b32_e64 v17, 0, v17, s0
	v_cmp_ngt_f32_e64 s0, 0xc2ce8ed0, v10
	s_delay_alu instid0(VALU_DEP_4) | instskip(SKIP_2) | instid1(VALU_DEP_3)
	v_dual_add_f32 v36, v36, v63 :: v_dual_add_f32 v23, v23, v53
	v_exp_f32_e32 v24, v24
	v_ldexp_f32 v19, v19, v46
	v_cndmask_b32_e64 v18, 0, v18, s0
	v_cmp_ngt_f32_e64 s0, 0xc2ce8ed0, v12
	v_cvt_i32_f32_e32 v56, v56
	v_exp_f32_e32 v20, v20
	v_exp_f32_e32 v23, v23
	v_cvt_i32_f32_e32 v48, v48
	v_cndmask_b32_e64 v19, 0, v19, s0
	v_cmp_nlt_f32_e64 s0, 0x42b17218, v5
	v_cvt_i32_f32_e32 v54, v54
	v_add_f32_e32 v21, v21, v49
	v_ldexp_f32 v43, v24, v56
	v_exp_f32_e32 v22, v22
	v_cndmask_b32_e64 v24, 0x7f800000, v17, s0
	v_cmp_nlt_f32_e64 s0, 0x42b17218, v10
	v_exp_f32_e32 v21, v21
	v_ldexp_f32 v20, v20, v48
	v_ldexp_f32 v42, v23, v54
	v_cvt_i32_f32_e32 v50, v50
	v_cndmask_b32_e64 v23, 0x7f800000, v18, s0
	v_cmp_ngt_f32_e64 s0, 0xc2ce8ed0, v11
	v_cvt_i32_f32_e32 v52, v52
	v_rndne_f32_e32 v62, v35
	v_fma_f32 v61, 0x3fb8aa3b, v28, -v35
	v_add_f32_e32 v10, v24, v23
	v_cndmask_b32_e64 v5, 0, v20, s0
	v_cmp_nlt_f32_e64 s0, 0x42b17218, v12
	v_ldexp_f32 v21, v21, v50
	v_ldexp_f32 v41, v22, v52
	v_sub_f32_e32 v35, v35, v62
	v_fma_f32 v57, 0x3fb8aa3b, v26, -v33
	v_cndmask_b32_e64 v22, 0x7f800000, v19, s0
	v_cmp_ngt_f32_e64 s0, 0xc2ce8ed0, v14
	v_rndne_f32_e32 v58, v33
	v_rndne_f32_e32 v72, v40
	v_fmac_f32_e32 v57, 0x32a5705f, v26
	v_fmac_f32_e32 v67, 0x32a5705f, v25
	v_cndmask_b32_e64 v12, 0, v21, s0
	v_cmp_nlt_f32_e64 s0, 0x42b17218, v11
	v_sub_f32_e32 v33, v33, v58
	v_fma_f32 v71, 0x3fb8aa3b, v32, -v40
	v_add_f32_e32 v38, v38, v67
	v_sub_f32_e32 v40, v40, v72
	v_cndmask_b32_e64 v21, 0x7f800000, v5, s0
	v_cmp_ngt_f32_e64 s0, 0xc2ce8ed0, v15
	v_add_f32_e32 v5, v10, v22
	v_add_f32_e32 v33, v33, v57
	v_cvt_i32_f32_e32 v58, v58
	v_fmac_f32_e32 v71, 0x32a5705f, v32
	v_cndmask_b32_e64 v10, 0, v41, s0
	v_cmp_nlt_f32_e64 s0, 0x42b17218, v14
	v_exp_f32_e32 v33, v33
	s_delay_alu instid0(VALU_DEP_3) | instskip(SKIP_1) | instid1(VALU_DEP_2)
	v_dual_fmac_f32 v61, 0x32a5705f, v28 :: v_dual_add_f32 v40, v40, v71
	v_exp_f32_e32 v34, v34
	v_cndmask_b32_e64 v20, 0x7f800000, v12, s0
	v_cmp_ngt_f32_e64 s0, 0xc2ce8ed0, v16
	v_cvt_i32_f32_e32 v60, v60
	v_add_f32_e32 v35, v35, v61
	v_fma_f32 v65, 0x3fb8aa3b, v30, -v37
	v_rndne_f32_e32 v66, v37
	v_cndmask_b32_e64 v11, 0, v42, s0
	v_cmp_nlt_f32_e64 s0, 0x42b17218, v15
	v_ldexp_f32 v33, v33, v58
	v_exp_f32_e32 v35, v35
	v_ldexp_f32 v34, v34, v60
	v_cvt_i32_f32_e32 v62, v62
	v_cndmask_b32_e64 v19, 0x7f800000, v10, s0
	v_cmp_ngt_f32_e64 s0, 0xc2ce8ed0, v13
	v_fmac_f32_e32 v65, 0x32a5705f, v30
	v_sub_f32_e32 v37, v37, v66
	v_exp_f32_e32 v36, v36
	v_cvt_i32_f32_e32 v64, v64
	v_cndmask_b32_e64 v10, 0, v43, s0
	v_cmp_nlt_f32_e64 s0, 0x42b17218, v16
	v_ldexp_f32 v35, v35, v62
	v_add_f32_e32 v37, v37, v65
	v_add_f32_e32 v5, v5, v21
	v_fma_f32 v69, 0x3fb8aa3b, v31, -v39
	v_cndmask_b32_e64 v18, 0x7f800000, v11, s0
	v_cmp_ngt_f32_e64 s0, 0xc2ce8ed0, v26
	v_exp_f32_e32 v37, v37
	v_ldexp_f32 v36, v36, v64
	v_rndne_f32_e32 v70, v39
	v_cvt_i32_f32_e32 v66, v66
	v_cndmask_b32_e64 v11, 0, v33, s0
	v_cmp_nlt_f32_e64 s0, 0x42b17218, v13
	v_add_f32_e32 v5, v5, v20
	v_fmac_f32_e32 v69, 0x32a5705f, v31
	v_sub_f32_e32 v39, v39, v70
	v_exp_f32_e32 v38, v38
	v_cndmask_b32_e64 v17, 0x7f800000, v10, s0
	v_cmp_ngt_f32_e64 s0, 0xc2ce8ed0, v27
	v_ldexp_f32 v37, v37, v66
	v_add_f32_e32 v5, v5, v19
	v_cvt_i32_f32_e32 v68, v68
	v_add_f32_e32 v39, v39, v69
	v_cndmask_b32_e64 v10, 0, v34, s0
	v_cmp_nlt_f32_e64 s0, 0x42b17218, v26
	v_add_f32_e32 v5, v5, v18
	v_ldexp_f32 v38, v38, v68
	v_exp_f32_e32 v39, v39
	v_cvt_i32_f32_e32 v70, v70
	v_cndmask_b32_e64 v16, 0x7f800000, v11, s0
	v_cmp_ngt_f32_e64 s0, 0xc2ce8ed0, v28
	v_add_f32_e32 v5, v5, v17
	v_exp_f32_e32 v40, v40
	v_cvt_i32_f32_e32 v72, v72
	s_delay_alu instid0(VALU_DEP_3) | instskip(SKIP_3) | instid1(VALU_DEP_3)
	v_cndmask_b32_e64 v11, 0, v35, s0
	v_cmp_nlt_f32_e64 s0, 0x42b17218, v27
	v_add_f32_e32 v5, v5, v16
	v_ldexp_f32 v39, v39, v70
	v_cndmask_b32_e64 v15, 0x7f800000, v10, s0
	v_cmp_ngt_f32_e64 s0, 0xc2ce8ed0, v29
	s_delay_alu instid0(VALU_DEP_2) | instskip(NEXT) | instid1(VALU_DEP_2)
	v_add_f32_e32 v5, v5, v15
	v_cndmask_b32_e64 v10, 0, v36, s0
	v_cmp_nlt_f32_e64 s0, 0x42b17218, v28
	s_delay_alu instid0(VALU_DEP_1) | instskip(SKIP_1) | instid1(VALU_DEP_2)
	v_cndmask_b32_e64 v14, 0x7f800000, v11, s0
	v_cmp_ngt_f32_e64 s0, 0xc2ce8ed0, v30
	v_add_f32_e32 v5, v5, v14
	s_delay_alu instid0(VALU_DEP_2) | instskip(SKIP_1) | instid1(VALU_DEP_1)
	v_cndmask_b32_e64 v11, 0, v37, s0
	v_cmp_nlt_f32_e64 s0, 0x42b17218, v29
	v_cndmask_b32_e64 v13, 0x7f800000, v10, s0
	v_cmp_ngt_f32_e64 s0, 0xc2ce8ed0, v25
	s_delay_alu instid0(VALU_DEP_2) | instskip(NEXT) | instid1(VALU_DEP_2)
	v_add_f32_e32 v5, v5, v13
	v_cndmask_b32_e64 v10, 0, v38, s0
	v_cmp_nlt_f32_e64 s0, 0x42b17218, v30
	s_delay_alu instid0(VALU_DEP_1) | instskip(SKIP_1) | instid1(VALU_DEP_2)
	v_cndmask_b32_e64 v12, 0x7f800000, v11, s0
	v_cmp_ngt_f32_e64 s0, 0xc2ce8ed0, v31
	v_add_f32_e32 v5, v5, v12
	s_delay_alu instid0(VALU_DEP_2) | instskip(SKIP_2) | instid1(VALU_DEP_2)
	v_cndmask_b32_e64 v26, 0, v39, s0
	v_cmp_nlt_f32_e64 s0, 0x42b17218, v25
	v_ldexp_f32 v25, v40, v72
	v_cndmask_b32_e64 v11, 0x7f800000, v10, s0
	v_cmp_nlt_f32_e64 s0, 0x42b17218, v31
	s_delay_alu instid0(VALU_DEP_2) | instskip(NEXT) | instid1(VALU_DEP_2)
	v_add_f32_e32 v5, v5, v11
	v_cndmask_b32_e64 v10, 0x7f800000, v26, s0
	v_cmp_ngt_f32_e64 s0, 0xc2ce8ed0, v32
	s_delay_alu instid0(VALU_DEP_2) | instskip(NEXT) | instid1(VALU_DEP_2)
	v_add_f32_e32 v26, v5, v10
	v_cndmask_b32_e64 v25, 0, v25, s0
	v_cmp_nlt_f32_e64 s0, 0x42b17218, v32
	s_delay_alu instid0(VALU_DEP_1) | instskip(SKIP_1) | instid1(VALU_DEP_2)
	v_cndmask_b32_e64 v5, 0x7f800000, v25, s0
	v_cmp_gt_i32_e64 s0, s6, v0
	v_add_f32_e32 v25, v26, v5
	s_delay_alu instid0(VALU_DEP_2)
	s_and_b32 s0, vcc_lo, s0
	ds_bpermute_b32 v3, v3, v25
	s_waitcnt lgkmcnt(0)
	v_add_f32_e32 v3, v25, v3
	ds_bpermute_b32 v4, v4, v3
	s_waitcnt lgkmcnt(0)
	v_add_f32_e32 v3, v3, v4
	;; [unrolled: 3-line block ×4, first 2 shown]
	ds_bpermute_b32 v4, v9, v3
	s_and_saveexec_b32 s1, s0
	s_cbranch_execz .LBB9_57
; %bb.21:
	v_cmp_neq_f32_e64 s0, 0xc61c4000, v8
	s_waitcnt lgkmcnt(0)
	v_dual_add_f32 v3, v3, v4 :: v_dual_mov_b32 v4, 0
	v_mov_b32_e32 v6, 0
	s_delay_alu instid0(VALU_DEP_3)
	s_and_saveexec_b32 s1, s0
	s_cbranch_execz .LBB9_23
; %bb.22:
	s_delay_alu instid0(VALU_DEP_2) | instskip(NEXT) | instid1(VALU_DEP_1)
	v_div_scale_f32 v6, null, v3, v3, v24
	v_rcp_f32_e32 v7, v6
	s_waitcnt_depctr 0xfff
	v_fma_f32 v8, -v6, v7, 1.0
	s_delay_alu instid0(VALU_DEP_1) | instskip(SKIP_1) | instid1(VALU_DEP_1)
	v_fmac_f32_e32 v7, v8, v7
	v_div_scale_f32 v8, vcc_lo, v24, v3, v24
	v_mul_f32_e32 v9, v8, v7
	s_delay_alu instid0(VALU_DEP_1) | instskip(NEXT) | instid1(VALU_DEP_1)
	v_fma_f32 v25, -v6, v9, v8
	v_fmac_f32_e32 v9, v25, v7
	s_delay_alu instid0(VALU_DEP_1) | instskip(NEXT) | instid1(VALU_DEP_1)
	v_fma_f32 v6, -v6, v9, v8
	v_div_fmas_f32 v6, v6, v7, v9
	s_delay_alu instid0(VALU_DEP_1) | instskip(NEXT) | instid1(VALU_DEP_1)
	v_div_fixup_f32 v6, v6, v3, v24
	v_cvt_f16_f32_e32 v6, v6
.LBB9_23:
	s_or_b32 exec_lo, exec_lo, s1
	s_and_saveexec_b32 s1, s0
	s_cbranch_execz .LBB9_25
; %bb.24:
	v_div_scale_f32 v4, null, v3, v3, v23
	s_delay_alu instid0(VALU_DEP_1) | instskip(SKIP_2) | instid1(VALU_DEP_1)
	v_rcp_f32_e32 v7, v4
	s_waitcnt_depctr 0xfff
	v_fma_f32 v8, -v4, v7, 1.0
	v_fmac_f32_e32 v7, v8, v7
	v_div_scale_f32 v8, vcc_lo, v23, v3, v23
	s_delay_alu instid0(VALU_DEP_1) | instskip(NEXT) | instid1(VALU_DEP_1)
	v_mul_f32_e32 v9, v8, v7
	v_fma_f32 v24, -v4, v9, v8
	s_delay_alu instid0(VALU_DEP_1) | instskip(NEXT) | instid1(VALU_DEP_1)
	v_fmac_f32_e32 v9, v24, v7
	v_fma_f32 v4, -v4, v9, v8
	s_delay_alu instid0(VALU_DEP_1) | instskip(NEXT) | instid1(VALU_DEP_1)
	v_div_fmas_f32 v4, v4, v7, v9
	v_div_fixup_f32 v4, v4, v3, v23
	s_delay_alu instid0(VALU_DEP_1)
	v_cvt_f16_f32_e32 v4, v4
.LBB9_25:
	s_or_b32 exec_lo, exec_lo, s1
	v_dual_mov_b32 v7, 0 :: v_dual_mov_b32 v8, 0
	s_and_saveexec_b32 s1, s0
	s_cbranch_execz .LBB9_27
; %bb.26:
	v_div_scale_f32 v8, null, v3, v3, v22
	s_delay_alu instid0(VALU_DEP_1) | instskip(SKIP_2) | instid1(VALU_DEP_1)
	v_rcp_f32_e32 v9, v8
	s_waitcnt_depctr 0xfff
	v_fma_f32 v23, -v8, v9, 1.0
	v_fmac_f32_e32 v9, v23, v9
	v_div_scale_f32 v23, vcc_lo, v22, v3, v22
	s_delay_alu instid0(VALU_DEP_1) | instskip(NEXT) | instid1(VALU_DEP_1)
	v_mul_f32_e32 v24, v23, v9
	v_fma_f32 v25, -v8, v24, v23
	s_delay_alu instid0(VALU_DEP_1) | instskip(NEXT) | instid1(VALU_DEP_1)
	v_fmac_f32_e32 v24, v25, v9
	v_fma_f32 v8, -v8, v24, v23
	s_delay_alu instid0(VALU_DEP_1) | instskip(NEXT) | instid1(VALU_DEP_1)
	v_div_fmas_f32 v8, v8, v9, v24
	v_div_fixup_f32 v8, v8, v3, v22
	s_delay_alu instid0(VALU_DEP_1)
	v_cvt_f16_f32_e32 v8, v8
.LBB9_27:
	s_or_b32 exec_lo, exec_lo, s1
	s_and_saveexec_b32 s1, s0
	s_cbranch_execz .LBB9_29
; %bb.28:
	v_div_scale_f32 v7, null, v3, v3, v21
	s_delay_alu instid0(VALU_DEP_1) | instskip(SKIP_2) | instid1(VALU_DEP_1)
	v_rcp_f32_e32 v9, v7
	s_waitcnt_depctr 0xfff
	v_fma_f32 v22, -v7, v9, 1.0
	v_fmac_f32_e32 v9, v22, v9
	v_div_scale_f32 v22, vcc_lo, v21, v3, v21
	s_delay_alu instid0(VALU_DEP_1) | instskip(NEXT) | instid1(VALU_DEP_1)
	v_mul_f32_e32 v23, v22, v9
	v_fma_f32 v24, -v7, v23, v22
	s_delay_alu instid0(VALU_DEP_1) | instskip(NEXT) | instid1(VALU_DEP_1)
	v_fmac_f32_e32 v23, v24, v9
	v_fma_f32 v7, -v7, v23, v22
	s_delay_alu instid0(VALU_DEP_1) | instskip(NEXT) | instid1(VALU_DEP_1)
	v_div_fmas_f32 v7, v7, v9, v23
	v_div_fixup_f32 v7, v7, v3, v21
	s_delay_alu instid0(VALU_DEP_1)
	v_cvt_f16_f32_e32 v7, v7
.LBB9_29:
	s_or_b32 exec_lo, exec_lo, s1
	v_add_nc_u32_e32 v9, 0x80, v0
	v_add_co_u32 v1, vcc_lo, s8, v1
	v_add_co_ci_u32_e32 v2, vcc_lo, s9, v2, vcc_lo
	v_perm_b32 v7, v7, v8, 0x5040100
	v_perm_b32 v6, v4, v6, 0x5040100
	v_cmp_gt_u32_e32 vcc_lo, s6, v9
	global_store_b64 v[1:2], v[6:7], off
	s_and_b32 exec_lo, exec_lo, vcc_lo
	s_cbranch_execz .LBB9_57
; %bb.30:
	v_mov_b32_e32 v4, 0
	v_mov_b32_e32 v6, 0
	s_and_saveexec_b32 s1, s0
	s_cbranch_execz .LBB9_32
; %bb.31:
	v_div_scale_f32 v6, null, v3, v3, v20
	s_delay_alu instid0(VALU_DEP_1) | instskip(SKIP_2) | instid1(VALU_DEP_1)
	v_rcp_f32_e32 v7, v6
	s_waitcnt_depctr 0xfff
	v_fma_f32 v8, -v6, v7, 1.0
	v_fmac_f32_e32 v7, v8, v7
	v_div_scale_f32 v8, vcc_lo, v20, v3, v20
	s_delay_alu instid0(VALU_DEP_1) | instskip(NEXT) | instid1(VALU_DEP_1)
	v_mul_f32_e32 v9, v8, v7
	v_fma_f32 v21, -v6, v9, v8
	s_delay_alu instid0(VALU_DEP_1) | instskip(NEXT) | instid1(VALU_DEP_1)
	v_fmac_f32_e32 v9, v21, v7
	v_fma_f32 v6, -v6, v9, v8
	s_delay_alu instid0(VALU_DEP_1) | instskip(NEXT) | instid1(VALU_DEP_1)
	v_div_fmas_f32 v6, v6, v7, v9
	v_div_fixup_f32 v6, v6, v3, v20
	s_delay_alu instid0(VALU_DEP_1)
	v_cvt_f16_f32_e32 v6, v6
.LBB9_32:
	s_or_b32 exec_lo, exec_lo, s1
	s_and_saveexec_b32 s1, s0
	s_cbranch_execz .LBB9_34
; %bb.33:
	v_div_scale_f32 v4, null, v3, v3, v19
	s_delay_alu instid0(VALU_DEP_1) | instskip(SKIP_2) | instid1(VALU_DEP_1)
	v_rcp_f32_e32 v7, v4
	s_waitcnt_depctr 0xfff
	v_fma_f32 v8, -v4, v7, 1.0
	v_fmac_f32_e32 v7, v8, v7
	v_div_scale_f32 v8, vcc_lo, v19, v3, v19
	s_delay_alu instid0(VALU_DEP_1) | instskip(NEXT) | instid1(VALU_DEP_1)
	v_mul_f32_e32 v9, v8, v7
	v_fma_f32 v20, -v4, v9, v8
	s_delay_alu instid0(VALU_DEP_1) | instskip(NEXT) | instid1(VALU_DEP_1)
	v_fmac_f32_e32 v9, v20, v7
	v_fma_f32 v4, -v4, v9, v8
	s_delay_alu instid0(VALU_DEP_1) | instskip(NEXT) | instid1(VALU_DEP_1)
	v_div_fmas_f32 v4, v4, v7, v9
	v_div_fixup_f32 v4, v4, v3, v19
	s_delay_alu instid0(VALU_DEP_1)
	v_cvt_f16_f32_e32 v4, v4
.LBB9_34:
	s_or_b32 exec_lo, exec_lo, s1
	v_dual_mov_b32 v7, 0 :: v_dual_mov_b32 v8, 0
	s_and_saveexec_b32 s1, s0
	s_cbranch_execz .LBB9_36
; %bb.35:
	v_div_scale_f32 v8, null, v3, v3, v18
	s_delay_alu instid0(VALU_DEP_1) | instskip(SKIP_2) | instid1(VALU_DEP_1)
	v_rcp_f32_e32 v9, v8
	s_waitcnt_depctr 0xfff
	v_fma_f32 v19, -v8, v9, 1.0
	v_fmac_f32_e32 v9, v19, v9
	v_div_scale_f32 v19, vcc_lo, v18, v3, v18
	s_delay_alu instid0(VALU_DEP_1) | instskip(NEXT) | instid1(VALU_DEP_1)
	v_mul_f32_e32 v20, v19, v9
	v_fma_f32 v21, -v8, v20, v19
	s_delay_alu instid0(VALU_DEP_1) | instskip(NEXT) | instid1(VALU_DEP_1)
	v_fmac_f32_e32 v20, v21, v9
	v_fma_f32 v8, -v8, v20, v19
	s_delay_alu instid0(VALU_DEP_1) | instskip(NEXT) | instid1(VALU_DEP_1)
	v_div_fmas_f32 v8, v8, v9, v20
	v_div_fixup_f32 v8, v8, v3, v18
	s_delay_alu instid0(VALU_DEP_1)
	v_cvt_f16_f32_e32 v8, v8
.LBB9_36:
	s_or_b32 exec_lo, exec_lo, s1
	s_and_saveexec_b32 s1, s0
	s_cbranch_execz .LBB9_38
; %bb.37:
	v_div_scale_f32 v7, null, v3, v3, v17
	s_delay_alu instid0(VALU_DEP_1) | instskip(SKIP_2) | instid1(VALU_DEP_1)
	v_rcp_f32_e32 v9, v7
	s_waitcnt_depctr 0xfff
	v_fma_f32 v18, -v7, v9, 1.0
	v_fmac_f32_e32 v9, v18, v9
	v_div_scale_f32 v18, vcc_lo, v17, v3, v17
	s_delay_alu instid0(VALU_DEP_1) | instskip(NEXT) | instid1(VALU_DEP_1)
	v_mul_f32_e32 v19, v18, v9
	v_fma_f32 v20, -v7, v19, v18
	s_delay_alu instid0(VALU_DEP_1) | instskip(NEXT) | instid1(VALU_DEP_1)
	v_fmac_f32_e32 v19, v20, v9
	v_fma_f32 v7, -v7, v19, v18
	s_delay_alu instid0(VALU_DEP_1) | instskip(NEXT) | instid1(VALU_DEP_1)
	v_div_fmas_f32 v7, v7, v9, v19
	v_div_fixup_f32 v7, v7, v3, v17
	s_delay_alu instid0(VALU_DEP_1)
	v_cvt_f16_f32_e32 v7, v7
.LBB9_38:
	s_or_b32 exec_lo, exec_lo, s1
	v_add_nc_u32_e32 v9, 0x100, v0
	s_delay_alu instid0(VALU_DEP_2) | instskip(SKIP_1) | instid1(VALU_DEP_3)
	v_perm_b32 v7, v7, v8, 0x5040100
	v_perm_b32 v6, v4, v6, 0x5040100
	v_cmp_gt_u32_e32 vcc_lo, s6, v9
	global_store_b64 v[1:2], v[6:7], off offset:256
	s_and_b32 exec_lo, exec_lo, vcc_lo
	s_cbranch_execz .LBB9_57
; %bb.39:
	v_mov_b32_e32 v4, 0
	v_mov_b32_e32 v6, 0
	s_and_saveexec_b32 s1, s0
	s_cbranch_execz .LBB9_41
; %bb.40:
	v_div_scale_f32 v6, null, v3, v3, v16
	s_delay_alu instid0(VALU_DEP_1) | instskip(SKIP_2) | instid1(VALU_DEP_1)
	v_rcp_f32_e32 v7, v6
	s_waitcnt_depctr 0xfff
	v_fma_f32 v8, -v6, v7, 1.0
	v_fmac_f32_e32 v7, v8, v7
	v_div_scale_f32 v8, vcc_lo, v16, v3, v16
	s_delay_alu instid0(VALU_DEP_1) | instskip(NEXT) | instid1(VALU_DEP_1)
	v_mul_f32_e32 v9, v8, v7
	v_fma_f32 v17, -v6, v9, v8
	s_delay_alu instid0(VALU_DEP_1) | instskip(NEXT) | instid1(VALU_DEP_1)
	v_fmac_f32_e32 v9, v17, v7
	v_fma_f32 v6, -v6, v9, v8
	s_delay_alu instid0(VALU_DEP_1) | instskip(NEXT) | instid1(VALU_DEP_1)
	v_div_fmas_f32 v6, v6, v7, v9
	v_div_fixup_f32 v6, v6, v3, v16
	s_delay_alu instid0(VALU_DEP_1)
	v_cvt_f16_f32_e32 v6, v6
.LBB9_41:
	s_or_b32 exec_lo, exec_lo, s1
	s_and_saveexec_b32 s1, s0
	s_cbranch_execz .LBB9_43
; %bb.42:
	v_div_scale_f32 v4, null, v3, v3, v15
	s_delay_alu instid0(VALU_DEP_1) | instskip(SKIP_2) | instid1(VALU_DEP_1)
	v_rcp_f32_e32 v7, v4
	s_waitcnt_depctr 0xfff
	v_fma_f32 v8, -v4, v7, 1.0
	v_fmac_f32_e32 v7, v8, v7
	v_div_scale_f32 v8, vcc_lo, v15, v3, v15
	s_delay_alu instid0(VALU_DEP_1) | instskip(NEXT) | instid1(VALU_DEP_1)
	v_mul_f32_e32 v9, v8, v7
	v_fma_f32 v16, -v4, v9, v8
	s_delay_alu instid0(VALU_DEP_1) | instskip(NEXT) | instid1(VALU_DEP_1)
	v_fmac_f32_e32 v9, v16, v7
	v_fma_f32 v4, -v4, v9, v8
	s_delay_alu instid0(VALU_DEP_1) | instskip(NEXT) | instid1(VALU_DEP_1)
	v_div_fmas_f32 v4, v4, v7, v9
	v_div_fixup_f32 v4, v4, v3, v15
	s_delay_alu instid0(VALU_DEP_1)
	v_cvt_f16_f32_e32 v4, v4
.LBB9_43:
	s_or_b32 exec_lo, exec_lo, s1
	v_dual_mov_b32 v7, 0 :: v_dual_mov_b32 v8, 0
	s_and_saveexec_b32 s1, s0
	s_cbranch_execz .LBB9_45
; %bb.44:
	v_div_scale_f32 v8, null, v3, v3, v14
	s_delay_alu instid0(VALU_DEP_1) | instskip(SKIP_2) | instid1(VALU_DEP_1)
	v_rcp_f32_e32 v9, v8
	s_waitcnt_depctr 0xfff
	v_fma_f32 v15, -v8, v9, 1.0
	v_fmac_f32_e32 v9, v15, v9
	v_div_scale_f32 v15, vcc_lo, v14, v3, v14
	s_delay_alu instid0(VALU_DEP_1) | instskip(NEXT) | instid1(VALU_DEP_1)
	v_mul_f32_e32 v16, v15, v9
	v_fma_f32 v17, -v8, v16, v15
	s_delay_alu instid0(VALU_DEP_1) | instskip(NEXT) | instid1(VALU_DEP_1)
	v_fmac_f32_e32 v16, v17, v9
	v_fma_f32 v8, -v8, v16, v15
	s_delay_alu instid0(VALU_DEP_1) | instskip(NEXT) | instid1(VALU_DEP_1)
	v_div_fmas_f32 v8, v8, v9, v16
	v_div_fixup_f32 v8, v8, v3, v14
	s_delay_alu instid0(VALU_DEP_1)
	v_cvt_f16_f32_e32 v8, v8
.LBB9_45:
	s_or_b32 exec_lo, exec_lo, s1
	s_and_saveexec_b32 s1, s0
	s_cbranch_execz .LBB9_47
; %bb.46:
	v_div_scale_f32 v7, null, v3, v3, v13
	s_delay_alu instid0(VALU_DEP_1) | instskip(SKIP_2) | instid1(VALU_DEP_1)
	v_rcp_f32_e32 v9, v7
	s_waitcnt_depctr 0xfff
	v_fma_f32 v14, -v7, v9, 1.0
	v_fmac_f32_e32 v9, v14, v9
	v_div_scale_f32 v14, vcc_lo, v13, v3, v13
	s_delay_alu instid0(VALU_DEP_1) | instskip(NEXT) | instid1(VALU_DEP_1)
	v_mul_f32_e32 v15, v14, v9
	v_fma_f32 v16, -v7, v15, v14
	s_delay_alu instid0(VALU_DEP_1) | instskip(NEXT) | instid1(VALU_DEP_1)
	v_fmac_f32_e32 v15, v16, v9
	v_fma_f32 v7, -v7, v15, v14
	s_delay_alu instid0(VALU_DEP_1) | instskip(NEXT) | instid1(VALU_DEP_1)
	v_div_fmas_f32 v7, v7, v9, v15
	v_div_fixup_f32 v7, v7, v3, v13
	s_delay_alu instid0(VALU_DEP_1)
	v_cvt_f16_f32_e32 v7, v7
.LBB9_47:
	s_or_b32 exec_lo, exec_lo, s1
	v_add_nc_u32_e32 v0, 0x180, v0
	s_delay_alu instid0(VALU_DEP_2) | instskip(SKIP_1) | instid1(VALU_DEP_3)
	v_perm_b32 v7, v7, v8, 0x5040100
	v_perm_b32 v6, v4, v6, 0x5040100
	v_cmp_gt_u32_e32 vcc_lo, s6, v0
	global_store_b64 v[1:2], v[6:7], off offset:512
	s_and_b32 exec_lo, exec_lo, vcc_lo
	s_cbranch_execz .LBB9_57
; %bb.48:
	v_mov_b32_e32 v0, 0
	v_mov_b32_e32 v4, 0
	s_and_saveexec_b32 s1, s0
	s_cbranch_execz .LBB9_50
; %bb.49:
	v_div_scale_f32 v4, null, v3, v3, v12
	s_delay_alu instid0(VALU_DEP_1) | instskip(SKIP_2) | instid1(VALU_DEP_1)
	v_rcp_f32_e32 v6, v4
	s_waitcnt_depctr 0xfff
	v_fma_f32 v7, -v4, v6, 1.0
	v_fmac_f32_e32 v6, v7, v6
	v_div_scale_f32 v7, vcc_lo, v12, v3, v12
	s_delay_alu instid0(VALU_DEP_1) | instskip(NEXT) | instid1(VALU_DEP_1)
	v_mul_f32_e32 v8, v7, v6
	v_fma_f32 v9, -v4, v8, v7
	s_delay_alu instid0(VALU_DEP_1) | instskip(NEXT) | instid1(VALU_DEP_1)
	v_fmac_f32_e32 v8, v9, v6
	v_fma_f32 v4, -v4, v8, v7
	s_delay_alu instid0(VALU_DEP_1) | instskip(NEXT) | instid1(VALU_DEP_1)
	v_div_fmas_f32 v4, v4, v6, v8
	v_div_fixup_f32 v4, v4, v3, v12
	s_delay_alu instid0(VALU_DEP_1)
	v_cvt_f16_f32_e32 v4, v4
.LBB9_50:
	s_or_b32 exec_lo, exec_lo, s1
	s_and_saveexec_b32 s1, s0
	s_cbranch_execz .LBB9_52
; %bb.51:
	v_div_scale_f32 v0, null, v3, v3, v11
	s_delay_alu instid0(VALU_DEP_1) | instskip(SKIP_2) | instid1(VALU_DEP_1)
	v_rcp_f32_e32 v6, v0
	s_waitcnt_depctr 0xfff
	v_fma_f32 v7, -v0, v6, 1.0
	v_fmac_f32_e32 v6, v7, v6
	v_div_scale_f32 v7, vcc_lo, v11, v3, v11
	s_delay_alu instid0(VALU_DEP_1) | instskip(NEXT) | instid1(VALU_DEP_1)
	v_mul_f32_e32 v8, v7, v6
	v_fma_f32 v9, -v0, v8, v7
	s_delay_alu instid0(VALU_DEP_1) | instskip(NEXT) | instid1(VALU_DEP_1)
	v_fmac_f32_e32 v8, v9, v6
	v_fma_f32 v0, -v0, v8, v7
	s_delay_alu instid0(VALU_DEP_1) | instskip(NEXT) | instid1(VALU_DEP_1)
	v_div_fmas_f32 v0, v0, v6, v8
	v_div_fixup_f32 v0, v0, v3, v11
	s_delay_alu instid0(VALU_DEP_1)
	v_cvt_f16_f32_e32 v0, v0
.LBB9_52:
	s_or_b32 exec_lo, exec_lo, s1
	v_dual_mov_b32 v6, 0 :: v_dual_mov_b32 v7, 0
	s_and_saveexec_b32 s1, s0
	s_cbranch_execz .LBB9_54
; %bb.53:
	v_div_scale_f32 v7, null, v3, v3, v10
	s_delay_alu instid0(VALU_DEP_1) | instskip(SKIP_2) | instid1(VALU_DEP_1)
	v_rcp_f32_e32 v8, v7
	s_waitcnt_depctr 0xfff
	v_fma_f32 v9, -v7, v8, 1.0
	v_fmac_f32_e32 v8, v9, v8
	v_div_scale_f32 v9, vcc_lo, v10, v3, v10
	s_delay_alu instid0(VALU_DEP_1) | instskip(NEXT) | instid1(VALU_DEP_1)
	v_mul_f32_e32 v11, v9, v8
	v_fma_f32 v12, -v7, v11, v9
	s_delay_alu instid0(VALU_DEP_1) | instskip(NEXT) | instid1(VALU_DEP_1)
	v_fmac_f32_e32 v11, v12, v8
	v_fma_f32 v7, -v7, v11, v9
	s_delay_alu instid0(VALU_DEP_1) | instskip(NEXT) | instid1(VALU_DEP_1)
	v_div_fmas_f32 v7, v7, v8, v11
	v_div_fixup_f32 v7, v7, v3, v10
	s_delay_alu instid0(VALU_DEP_1)
	v_cvt_f16_f32_e32 v7, v7
.LBB9_54:
	s_or_b32 exec_lo, exec_lo, s1
	s_and_saveexec_b32 s1, s0
	s_cbranch_execz .LBB9_56
; %bb.55:
	v_div_scale_f32 v6, null, v3, v3, v5
	s_delay_alu instid0(VALU_DEP_1) | instskip(SKIP_2) | instid1(VALU_DEP_1)
	v_rcp_f32_e32 v8, v6
	s_waitcnt_depctr 0xfff
	v_fma_f32 v9, -v6, v8, 1.0
	v_fmac_f32_e32 v8, v9, v8
	v_div_scale_f32 v9, vcc_lo, v5, v3, v5
	s_delay_alu instid0(VALU_DEP_1) | instskip(NEXT) | instid1(VALU_DEP_1)
	v_mul_f32_e32 v10, v9, v8
	v_fma_f32 v11, -v6, v10, v9
	s_delay_alu instid0(VALU_DEP_1) | instskip(NEXT) | instid1(VALU_DEP_1)
	v_fmac_f32_e32 v10, v11, v8
	v_fma_f32 v6, -v6, v10, v9
	s_delay_alu instid0(VALU_DEP_1) | instskip(NEXT) | instid1(VALU_DEP_1)
	v_div_fmas_f32 v6, v6, v8, v10
	v_div_fixup_f32 v3, v6, v3, v5
	s_delay_alu instid0(VALU_DEP_1)
	v_cvt_f16_f32_e32 v6, v3
.LBB9_56:
	s_or_b32 exec_lo, exec_lo, s1
	s_delay_alu instid0(VALU_DEP_1)
	v_perm_b32 v5, v6, v7, 0x5040100
	v_perm_b32 v4, v0, v4, 0x5040100
	global_store_b64 v[1:2], v[4:5], off offset:768
.LBB9_57:
	s_nop 0
	s_sendmsg sendmsg(MSG_DEALLOC_VGPRS)
	s_endpgm
	.section	.rodata,"a",@progbits
	.p2align	6, 0x0
	.amdhsa_kernel _Z34scaled_masked_softmax_warp_forwardI6__halfS0_fLi9EEvPT0_PKT_PKhT1_iii
		.amdhsa_group_segment_fixed_size 0
		.amdhsa_private_segment_fixed_size 0
		.amdhsa_kernarg_size 296
		.amdhsa_user_sgpr_count 13
		.amdhsa_user_sgpr_dispatch_ptr 0
		.amdhsa_user_sgpr_queue_ptr 0
		.amdhsa_user_sgpr_kernarg_segment_ptr 1
		.amdhsa_user_sgpr_dispatch_id 0
		.amdhsa_user_sgpr_private_segment_size 0
		.amdhsa_wavefront_size32 1
		.amdhsa_uses_dynamic_stack 0
		.amdhsa_enable_private_segment 0
		.amdhsa_system_sgpr_workgroup_id_x 1
		.amdhsa_system_sgpr_workgroup_id_y 1
		.amdhsa_system_sgpr_workgroup_id_z 1
		.amdhsa_system_sgpr_workgroup_info 0
		.amdhsa_system_vgpr_workitem_id 1
		.amdhsa_next_free_vgpr 73
		.amdhsa_next_free_sgpr 16
		.amdhsa_reserve_vcc 1
		.amdhsa_float_round_mode_32 0
		.amdhsa_float_round_mode_16_64 0
		.amdhsa_float_denorm_mode_32 3
		.amdhsa_float_denorm_mode_16_64 3
		.amdhsa_dx10_clamp 1
		.amdhsa_ieee_mode 1
		.amdhsa_fp16_overflow 0
		.amdhsa_workgroup_processor_mode 1
		.amdhsa_memory_ordered 1
		.amdhsa_forward_progress 0
		.amdhsa_shared_vgpr_count 0
		.amdhsa_exception_fp_ieee_invalid_op 0
		.amdhsa_exception_fp_denorm_src 0
		.amdhsa_exception_fp_ieee_div_zero 0
		.amdhsa_exception_fp_ieee_overflow 0
		.amdhsa_exception_fp_ieee_underflow 0
		.amdhsa_exception_fp_ieee_inexact 0
		.amdhsa_exception_int_div_zero 0
	.end_amdhsa_kernel
	.section	.text._Z34scaled_masked_softmax_warp_forwardI6__halfS0_fLi9EEvPT0_PKT_PKhT1_iii,"axG",@progbits,_Z34scaled_masked_softmax_warp_forwardI6__halfS0_fLi9EEvPT0_PKT_PKhT1_iii,comdat
.Lfunc_end9:
	.size	_Z34scaled_masked_softmax_warp_forwardI6__halfS0_fLi9EEvPT0_PKT_PKhT1_iii, .Lfunc_end9-_Z34scaled_masked_softmax_warp_forwardI6__halfS0_fLi9EEvPT0_PKT_PKhT1_iii
                                        ; -- End function
	.section	.AMDGPU.csdata,"",@progbits
; Kernel info:
; codeLenInByte = 5964
; NumSgprs: 18
; NumVgprs: 73
; ScratchSize: 0
; MemoryBound: 0
; FloatMode: 240
; IeeeMode: 1
; LDSByteSize: 0 bytes/workgroup (compile time only)
; SGPRBlocks: 2
; VGPRBlocks: 9
; NumSGPRsForWavesPerEU: 18
; NumVGPRsForWavesPerEU: 73
; Occupancy: 16
; WaveLimiterHint : 0
; COMPUTE_PGM_RSRC2:SCRATCH_EN: 0
; COMPUTE_PGM_RSRC2:USER_SGPR: 13
; COMPUTE_PGM_RSRC2:TRAP_HANDLER: 0
; COMPUTE_PGM_RSRC2:TGID_X_EN: 1
; COMPUTE_PGM_RSRC2:TGID_Y_EN: 1
; COMPUTE_PGM_RSRC2:TGID_Z_EN: 1
; COMPUTE_PGM_RSRC2:TIDIG_COMP_CNT: 1
	.section	.text._Z34scaled_masked_softmax_warp_forwardI6__halfS0_fLi10EEvPT0_PKT_PKhT1_iii,"axG",@progbits,_Z34scaled_masked_softmax_warp_forwardI6__halfS0_fLi10EEvPT0_PKT_PKhT1_iii,comdat
	.protected	_Z34scaled_masked_softmax_warp_forwardI6__halfS0_fLi10EEvPT0_PKT_PKhT1_iii ; -- Begin function _Z34scaled_masked_softmax_warp_forwardI6__halfS0_fLi10EEvPT0_PKT_PKhT1_iii
	.globl	_Z34scaled_masked_softmax_warp_forwardI6__halfS0_fLi10EEvPT0_PKT_PKhT1_iii
	.p2align	8
	.type	_Z34scaled_masked_softmax_warp_forwardI6__halfS0_fLi10EEvPT0_PKT_PKhT1_iii,@function
_Z34scaled_masked_softmax_warp_forwardI6__halfS0_fLi10EEvPT0_PKT_PKhT1_iii: ; @_Z34scaled_masked_softmax_warp_forwardI6__halfS0_fLi10EEvPT0_PKT_PKhT1_iii
; %bb.0:
	s_clause 0x2
	s_load_b32 s8, s[0:1], 0x34
	s_load_b128 s[4:7], s[0:1], 0x18
	s_load_b64 s[2:3], s[0:1], 0x28
	s_waitcnt lgkmcnt(0)
	s_lshr_b32 s8, s8, 16
	s_cmp_eq_u32 s7, 1
	s_mov_b32 s7, s13
	s_cbranch_scc1 .LBB10_2
; %bb.1:
	s_mul_i32 s7, s2, s15
	s_delay_alu instid0(SALU_CYCLE_1)
	s_add_i32 s7, s7, s13
.LBB10_2:
	s_mul_i32 s3, s3, s15
	v_bfe_u32 v3, v0, 10, 10
	s_add_i32 s3, s3, s14
	s_and_b32 s12, 0xffff, s8
	s_mul_i32 s2, s2, s3
	v_and_b32_e32 v0, 0x3ff, v0
	s_add_i32 s2, s2, s13
                                        ; implicit-def: $vgpr20
                                        ; implicit-def: $vgpr25
                                        ; implicit-def: $vgpr22
                                        ; implicit-def: $vgpr21
                                        ; implicit-def: $vgpr24
                                        ; implicit-def: $vgpr29
                                        ; implicit-def: $vgpr26
                                        ; implicit-def: $vgpr23
                                        ; implicit-def: $vgpr28
                                        ; implicit-def: $vgpr33
                                        ; implicit-def: $vgpr30
                                        ; implicit-def: $vgpr27
                                        ; implicit-def: $vgpr32
                                        ; implicit-def: $vgpr37
                                        ; implicit-def: $vgpr34
                                        ; implicit-def: $vgpr31
                                        ; implicit-def: $vgpr36
                                        ; implicit-def: $vgpr40
                                        ; implicit-def: $vgpr38
                                        ; implicit-def: $vgpr35
                                        ; implicit-def: $vgpr39
                                        ; implicit-def: $vgpr42
                                        ; implicit-def: $vgpr41
                                        ; implicit-def: $vgpr12
                                        ; implicit-def: $vgpr14
                                        ; implicit-def: $vgpr15
                                        ; implicit-def: $vgpr13
                                        ; implicit-def: $vgpr10
                                        ; implicit-def: $vgpr9
                                        ; implicit-def: $vgpr11
                                        ; implicit-def: $vgpr8
                                        ; implicit-def: $vgpr7
	s_delay_alu instid0(SALU_CYCLE_1) | instskip(NEXT) | instid1(VALU_DEP_2)
	v_mad_u64_u32 v[4:5], null, s2, s12, v[3:4]
	v_lshlrev_b32_e32 v0, 2, v0
	s_clause 0x1
	s_load_b128 s[8:11], s[0:1], 0x0
	s_load_b64 s[2:3], s[0:1], 0x10
	s_delay_alu instid0(VALU_DEP_1) | instskip(SKIP_1) | instid1(VALU_DEP_2)
	v_mad_u64_u32 v[1:2], null, v4, s6, v[0:1]
	v_cmp_gt_i32_e32 vcc_lo, s5, v4
	v_ashrrev_i32_e32 v2, 31, v1
	s_delay_alu instid0(VALU_DEP_1)
	v_lshlrev_b64 v[1:2], 1, v[1:2]
	s_and_saveexec_b32 s5, vcc_lo
	s_cbranch_execz .LBB10_36
; %bb.3:
	v_mad_u64_u32 v[4:5], null, s7, s12, v[3:4]
	s_waitcnt lgkmcnt(0)
	s_delay_alu instid0(VALU_DEP_2) | instskip(SKIP_2) | instid1(VALU_DEP_4)
	v_add_co_u32 v3, s0, s10, v1
	v_dual_mov_b32 v20, 0xff800000 :: v_dual_mov_b32 v25, 0xff800000
	v_dual_mov_b32 v22, 0xff800000 :: v_dual_mov_b32 v21, 0xff800000
	v_mad_u64_u32 v[5:6], null, v4, s6, v[0:1]
	v_add_co_ci_u32_e64 v4, s0, s11, v2, s0
	s_delay_alu instid0(VALU_DEP_2) | instskip(SKIP_1) | instid1(VALU_DEP_1)
	v_ashrrev_i32_e32 v6, 31, v5
	v_add_co_u32 v5, s1, s2, v5
	v_add_co_ci_u32_e64 v6, s1, s3, v6, s1
	s_mov_b32 s1, exec_lo
	v_cmpx_gt_i32_e64 s6, v0
	s_cbranch_execz .LBB10_7
; %bb.4:
	global_load_b32 v8, v[5:6], off
	s_clause 0x1
	global_load_d16_b16 v7, v[3:4], off offset:6
	global_load_b32 v9, v[3:4], off offset:2
	v_mov_b32_e32 v20, 0xc61c4000
	s_mov_b32 s2, exec_lo
	s_waitcnt vmcnt(2)
	v_and_b32_e32 v10, 0xff, v8
	s_delay_alu instid0(VALU_DEP_1)
	v_cmpx_ne_u16_e32 1, v10
	s_cbranch_execz .LBB10_6
; %bb.5:
	global_load_u16 v10, v[3:4], off
	s_waitcnt vmcnt(0)
	v_cvt_f32_f16_e32 v10, v10
	s_delay_alu instid0(VALU_DEP_1)
	v_mul_f32_e32 v20, s4, v10
.LBB10_6:
	s_or_b32 exec_lo, exec_lo, s2
	v_lshrrev_b32_e32 v12, 8, v8
	s_waitcnt vmcnt(0)
	v_lshrrev_b32_e32 v10, 16, v9
	v_lshrrev_b32_e32 v11, 16, v8
	v_cvt_f32_f16_e32 v9, v9
	v_lshrrev_b32_e32 v8, 24, v8
	v_and_b32_e32 v12, 0xff, v12
	v_cvt_f32_f16_e32 v10, v10
	v_and_b32_e32 v11, 0xff, v11
	v_mul_f32_e32 v9, s4, v9
	v_cvt_f32_f16_e32 v7, v7
	v_cmp_ne_u16_e64 s0, 1, v12
	s_delay_alu instid0(VALU_DEP_2) | instskip(NEXT) | instid1(VALU_DEP_2)
	v_dual_mul_f32 v10, s4, v10 :: v_dual_mul_f32 v7, s4, v7
	v_cndmask_b32_e64 v25, 0xc61c4000, v9, s0
	v_cmp_ne_u16_e64 s0, 1, v11
	s_delay_alu instid0(VALU_DEP_1) | instskip(SKIP_1) | instid1(VALU_DEP_1)
	v_cndmask_b32_e64 v22, 0xc61c4000, v10, s0
	v_cmp_ne_u16_e64 s0, 1, v8
	v_cndmask_b32_e64 v21, 0xc61c4000, v7, s0
.LBB10_7:
	s_or_b32 exec_lo, exec_lo, s1
	v_add_nc_u32_e32 v7, 0x80, v0
	v_dual_mov_b32 v24, 0xff800000 :: v_dual_mov_b32 v29, 0xff800000
	v_dual_mov_b32 v26, 0xff800000 :: v_dual_mov_b32 v23, 0xff800000
	s_mov_b32 s1, exec_lo
	s_delay_alu instid0(VALU_DEP_3)
	v_cmpx_gt_i32_e64 s6, v7
	s_cbranch_execz .LBB10_11
; %bb.8:
	global_load_b32 v8, v[5:6], off offset:128
	s_clause 0x1
	global_load_d16_b16 v7, v[3:4], off offset:262
	global_load_b32 v9, v[3:4], off offset:258
	v_mov_b32_e32 v24, 0xc61c4000
	s_mov_b32 s2, exec_lo
	s_waitcnt vmcnt(2)
	v_and_b32_e32 v10, 0xff, v8
	s_delay_alu instid0(VALU_DEP_1)
	v_cmpx_ne_u16_e32 1, v10
	s_cbranch_execz .LBB10_10
; %bb.9:
	global_load_u16 v10, v[3:4], off offset:256
	s_waitcnt vmcnt(0)
	v_cvt_f32_f16_e32 v10, v10
	s_delay_alu instid0(VALU_DEP_1)
	v_mul_f32_e32 v24, s4, v10
.LBB10_10:
	s_or_b32 exec_lo, exec_lo, s2
	v_lshrrev_b32_e32 v12, 8, v8
	s_waitcnt vmcnt(0)
	v_lshrrev_b32_e32 v10, 16, v9
	v_lshrrev_b32_e32 v11, 16, v8
	v_cvt_f32_f16_e32 v9, v9
	v_lshrrev_b32_e32 v8, 24, v8
	v_and_b32_e32 v12, 0xff, v12
	v_cvt_f32_f16_e32 v10, v10
	v_and_b32_e32 v11, 0xff, v11
	v_mul_f32_e32 v9, s4, v9
	v_cvt_f32_f16_e32 v7, v7
	v_cmp_ne_u16_e64 s0, 1, v12
	s_delay_alu instid0(VALU_DEP_2) | instskip(NEXT) | instid1(VALU_DEP_2)
	v_dual_mul_f32 v10, s4, v10 :: v_dual_mul_f32 v7, s4, v7
	v_cndmask_b32_e64 v29, 0xc61c4000, v9, s0
	v_cmp_ne_u16_e64 s0, 1, v11
	s_delay_alu instid0(VALU_DEP_1) | instskip(SKIP_1) | instid1(VALU_DEP_1)
	v_cndmask_b32_e64 v26, 0xc61c4000, v10, s0
	v_cmp_ne_u16_e64 s0, 1, v8
	v_cndmask_b32_e64 v23, 0xc61c4000, v7, s0
.LBB10_11:
	s_or_b32 exec_lo, exec_lo, s1
	v_add_nc_u32_e32 v7, 0x100, v0
	v_dual_mov_b32 v28, 0xff800000 :: v_dual_mov_b32 v33, 0xff800000
	v_dual_mov_b32 v30, 0xff800000 :: v_dual_mov_b32 v27, 0xff800000
	s_mov_b32 s1, exec_lo
	s_delay_alu instid0(VALU_DEP_3)
	v_cmpx_gt_i32_e64 s6, v7
	s_cbranch_execz .LBB10_15
; %bb.12:
	global_load_b32 v8, v[5:6], off offset:256
	s_clause 0x1
	global_load_d16_b16 v7, v[3:4], off offset:518
	global_load_b32 v9, v[3:4], off offset:514
	v_mov_b32_e32 v28, 0xc61c4000
	s_mov_b32 s2, exec_lo
	s_waitcnt vmcnt(2)
	v_and_b32_e32 v10, 0xff, v8
	s_delay_alu instid0(VALU_DEP_1)
	v_cmpx_ne_u16_e32 1, v10
	s_cbranch_execz .LBB10_14
; %bb.13:
	global_load_u16 v10, v[3:4], off offset:512
	s_waitcnt vmcnt(0)
	v_cvt_f32_f16_e32 v10, v10
	s_delay_alu instid0(VALU_DEP_1)
	v_mul_f32_e32 v28, s4, v10
.LBB10_14:
	s_or_b32 exec_lo, exec_lo, s2
	v_lshrrev_b32_e32 v12, 8, v8
	s_waitcnt vmcnt(0)
	v_lshrrev_b32_e32 v10, 16, v9
	v_lshrrev_b32_e32 v11, 16, v8
	v_cvt_f32_f16_e32 v9, v9
	v_lshrrev_b32_e32 v8, 24, v8
	v_and_b32_e32 v12, 0xff, v12
	v_cvt_f32_f16_e32 v10, v10
	v_and_b32_e32 v11, 0xff, v11
	v_mul_f32_e32 v9, s4, v9
	v_cvt_f32_f16_e32 v7, v7
	v_cmp_ne_u16_e64 s0, 1, v12
	s_delay_alu instid0(VALU_DEP_2) | instskip(NEXT) | instid1(VALU_DEP_2)
	v_dual_mul_f32 v10, s4, v10 :: v_dual_mul_f32 v7, s4, v7
	v_cndmask_b32_e64 v33, 0xc61c4000, v9, s0
	v_cmp_ne_u16_e64 s0, 1, v11
	s_delay_alu instid0(VALU_DEP_1) | instskip(SKIP_1) | instid1(VALU_DEP_1)
	v_cndmask_b32_e64 v30, 0xc61c4000, v10, s0
	v_cmp_ne_u16_e64 s0, 1, v8
	v_cndmask_b32_e64 v27, 0xc61c4000, v7, s0
.LBB10_15:
	;; [unrolled: 49-line block ×3, first 2 shown]
	s_or_b32 exec_lo, exec_lo, s1
	v_add_nc_u32_e32 v7, 0x200, v0
	v_dual_mov_b32 v36, 0xff800000 :: v_dual_mov_b32 v35, 0xff800000
	v_mov_b32_e32 v40, 0xff800000
	v_mov_b32_e32 v38, 0xff800000
	s_mov_b32 s1, exec_lo
	v_cmpx_gt_i32_e64 s6, v7
	s_cbranch_execz .LBB10_23
; %bb.20:
	global_load_b32 v8, v[5:6], off offset:512
	s_clause 0x1
	global_load_d16_b16 v7, v[3:4], off offset:1030
	global_load_b32 v9, v[3:4], off offset:1026
	v_mov_b32_e32 v36, 0xc61c4000
	s_mov_b32 s2, exec_lo
	s_waitcnt vmcnt(2)
	v_and_b32_e32 v10, 0xff, v8
	s_delay_alu instid0(VALU_DEP_1)
	v_cmpx_ne_u16_e32 1, v10
	s_cbranch_execz .LBB10_22
; %bb.21:
	global_load_u16 v10, v[3:4], off offset:1024
	s_waitcnt vmcnt(0)
	v_cvt_f32_f16_e32 v10, v10
	s_delay_alu instid0(VALU_DEP_1)
	v_mul_f32_e32 v36, s4, v10
.LBB10_22:
	s_or_b32 exec_lo, exec_lo, s2
	v_lshrrev_b32_e32 v12, 8, v8
	s_waitcnt vmcnt(0)
	v_lshrrev_b32_e32 v10, 16, v9
	v_lshrrev_b32_e32 v11, 16, v8
	v_cvt_f32_f16_e32 v9, v9
	v_lshrrev_b32_e32 v8, 24, v8
	v_and_b32_e32 v12, 0xff, v12
	v_cvt_f32_f16_e32 v10, v10
	v_and_b32_e32 v11, 0xff, v11
	v_mul_f32_e32 v9, s4, v9
	v_cvt_f32_f16_e32 v7, v7
	v_cmp_ne_u16_e64 s0, 1, v12
	s_delay_alu instid0(VALU_DEP_2) | instskip(NEXT) | instid1(VALU_DEP_2)
	v_dual_mul_f32 v10, s4, v10 :: v_dual_mul_f32 v7, s4, v7
	v_cndmask_b32_e64 v40, 0xc61c4000, v9, s0
	v_cmp_ne_u16_e64 s0, 1, v11
	s_delay_alu instid0(VALU_DEP_1) | instskip(SKIP_1) | instid1(VALU_DEP_1)
	v_cndmask_b32_e64 v38, 0xc61c4000, v10, s0
	v_cmp_ne_u16_e64 s0, 1, v8
	v_cndmask_b32_e64 v35, 0xc61c4000, v7, s0
.LBB10_23:
	s_or_b32 exec_lo, exec_lo, s1
	v_add_nc_u32_e32 v7, 0x280, v0
	v_dual_mov_b32 v39, 0xff800000 :: v_dual_mov_b32 v42, 0xff800000
	v_dual_mov_b32 v41, 0xff800000 :: v_dual_mov_b32 v12, 0xff800000
	s_mov_b32 s1, exec_lo
	s_delay_alu instid0(VALU_DEP_3)
	v_cmpx_gt_i32_e64 s6, v7
	s_cbranch_execz .LBB10_27
; %bb.24:
	global_load_b32 v8, v[5:6], off offset:640
	s_clause 0x1
	global_load_d16_b16 v7, v[3:4], off offset:1286
	global_load_b32 v9, v[3:4], off offset:1282
	v_mov_b32_e32 v39, 0xc61c4000
	s_mov_b32 s2, exec_lo
	s_waitcnt vmcnt(2)
	v_and_b32_e32 v10, 0xff, v8
	s_delay_alu instid0(VALU_DEP_1)
	v_cmpx_ne_u16_e32 1, v10
	s_cbranch_execz .LBB10_26
; %bb.25:
	global_load_u16 v10, v[3:4], off offset:1280
	s_waitcnt vmcnt(0)
	v_cvt_f32_f16_e32 v10, v10
	s_delay_alu instid0(VALU_DEP_1)
	v_mul_f32_e32 v39, s4, v10
.LBB10_26:
	s_or_b32 exec_lo, exec_lo, s2
	v_lshrrev_b32_e32 v12, 8, v8
	s_waitcnt vmcnt(0)
	v_lshrrev_b32_e32 v10, 16, v9
	v_lshrrev_b32_e32 v11, 16, v8
	v_cvt_f32_f16_e32 v9, v9
	v_lshrrev_b32_e32 v8, 24, v8
	v_and_b32_e32 v12, 0xff, v12
	v_cvt_f32_f16_e32 v10, v10
	v_and_b32_e32 v11, 0xff, v11
	v_mul_f32_e32 v9, s4, v9
	v_cvt_f32_f16_e32 v7, v7
	v_cmp_ne_u16_e64 s0, 1, v12
	s_delay_alu instid0(VALU_DEP_2) | instskip(NEXT) | instid1(VALU_DEP_2)
	v_dual_mul_f32 v10, s4, v10 :: v_dual_mul_f32 v7, s4, v7
	v_cndmask_b32_e64 v42, 0xc61c4000, v9, s0
	v_cmp_ne_u16_e64 s0, 1, v11
	s_delay_alu instid0(VALU_DEP_1) | instskip(SKIP_1) | instid1(VALU_DEP_1)
	v_cndmask_b32_e64 v41, 0xc61c4000, v10, s0
	v_cmp_ne_u16_e64 s0, 1, v8
	v_cndmask_b32_e64 v12, 0xc61c4000, v7, s0
.LBB10_27:
	s_or_b32 exec_lo, exec_lo, s1
	v_add_nc_u32_e32 v7, 0x300, v0
	v_dual_mov_b32 v14, 0xff800000 :: v_dual_mov_b32 v15, 0xff800000
	v_dual_mov_b32 v13, 0xff800000 :: v_dual_mov_b32 v10, 0xff800000
	s_mov_b32 s1, exec_lo
	s_delay_alu instid0(VALU_DEP_3)
	v_cmpx_gt_i32_e64 s6, v7
	s_cbranch_execz .LBB10_31
; %bb.28:
	global_load_b32 v8, v[5:6], off offset:768
	s_clause 0x1
	global_load_d16_b16 v7, v[3:4], off offset:1542
	global_load_b32 v9, v[3:4], off offset:1538
	v_mov_b32_e32 v14, 0xc61c4000
	s_mov_b32 s2, exec_lo
	s_waitcnt vmcnt(2)
	v_and_b32_e32 v10, 0xff, v8
	s_delay_alu instid0(VALU_DEP_1)
	v_cmpx_ne_u16_e32 1, v10
	s_cbranch_execz .LBB10_30
; %bb.29:
	global_load_u16 v10, v[3:4], off offset:1536
	s_waitcnt vmcnt(0)
	v_cvt_f32_f16_e32 v10, v10
	s_delay_alu instid0(VALU_DEP_1)
	v_mul_f32_e32 v14, s4, v10
.LBB10_30:
	s_or_b32 exec_lo, exec_lo, s2
	s_waitcnt vmcnt(0)
	v_lshrrev_b32_e32 v10, 16, v9
	v_lshrrev_b32_e32 v13, 8, v8
	;; [unrolled: 1-line block ×3, first 2 shown]
	v_cvt_f32_f16_e32 v9, v9
	v_lshrrev_b32_e32 v8, 24, v8
	v_cvt_f32_f16_e32 v10, v10
	v_and_b32_e32 v13, 0xff, v13
	v_and_b32_e32 v11, 0xff, v11
	v_mul_f32_e32 v9, s4, v9
	v_cvt_f32_f16_e32 v7, v7
	v_mul_f32_e32 v10, s4, v10
	v_cmp_ne_u16_e64 s0, 1, v13
	s_delay_alu instid0(VALU_DEP_3) | instskip(NEXT) | instid1(VALU_DEP_2)
	v_mul_f32_e32 v7, s4, v7
	v_cndmask_b32_e64 v15, 0xc61c4000, v9, s0
	v_cmp_ne_u16_e64 s0, 1, v11
	s_delay_alu instid0(VALU_DEP_1) | instskip(SKIP_1) | instid1(VALU_DEP_1)
	v_cndmask_b32_e64 v13, 0xc61c4000, v10, s0
	v_cmp_ne_u16_e64 s0, 1, v8
	v_cndmask_b32_e64 v10, 0xc61c4000, v7, s0
.LBB10_31:
	s_or_b32 exec_lo, exec_lo, s1
	v_add_nc_u32_e32 v7, 0x380, v0
	v_dual_mov_b32 v9, 0xff800000 :: v_dual_mov_b32 v8, 0xff800000
	v_mov_b32_e32 v11, 0xff800000
	s_delay_alu instid0(VALU_DEP_3) | instskip(SKIP_1) | instid1(VALU_DEP_2)
	v_cmp_gt_i32_e64 s0, s6, v7
	v_mov_b32_e32 v7, 0xff800000
	s_and_saveexec_b32 s1, s0
	s_cbranch_execz .LBB10_35
; %bb.32:
	global_load_b32 v6, v[5:6], off offset:896
	s_clause 0x1
	global_load_d16_b16 v5, v[3:4], off offset:1798
	global_load_b32 v7, v[3:4], off offset:1794
	v_mov_b32_e32 v9, 0xc61c4000
	s_mov_b32 s2, exec_lo
	s_waitcnt vmcnt(2)
	v_and_b32_e32 v8, 0xff, v6
	s_delay_alu instid0(VALU_DEP_1)
	v_cmpx_ne_u16_e32 1, v8
	s_cbranch_execz .LBB10_34
; %bb.33:
	global_load_u16 v3, v[3:4], off offset:1792
	s_waitcnt vmcnt(0)
	v_cvt_f32_f16_e32 v3, v3
	s_delay_alu instid0(VALU_DEP_1)
	v_mul_f32_e32 v9, s4, v3
.LBB10_34:
	s_or_b32 exec_lo, exec_lo, s2
	v_lshrrev_b32_e32 v8, 8, v6
	s_waitcnt vmcnt(0)
	v_lshrrev_b32_e32 v3, 16, v7
	v_lshrrev_b32_e32 v4, 16, v6
	v_cvt_f32_f16_e32 v7, v7
	v_lshrrev_b32_e32 v6, 24, v6
	v_and_b32_e32 v8, 0xff, v8
	v_cvt_f32_f16_e32 v3, v3
	s_delay_alu instid0(VALU_DEP_4) | instskip(SKIP_1) | instid1(VALU_DEP_4)
	v_dual_mul_f32 v7, s4, v7 :: v_dual_and_b32 v4, 0xff, v4
	v_cvt_f32_f16_e32 v5, v5
	v_cmp_ne_u16_e64 s0, 1, v8
	s_delay_alu instid0(VALU_DEP_4) | instskip(NEXT) | instid1(VALU_DEP_3)
	v_mul_f32_e32 v3, s4, v3
	v_mul_f32_e32 v5, s4, v5
	s_delay_alu instid0(VALU_DEP_3) | instskip(SKIP_1) | instid1(VALU_DEP_1)
	v_cndmask_b32_e64 v11, 0xc61c4000, v7, s0
	v_cmp_ne_u16_e64 s0, 1, v4
	v_cndmask_b32_e64 v8, 0xc61c4000, v3, s0
	v_cmp_ne_u16_e64 s0, 1, v6
	s_delay_alu instid0(VALU_DEP_1)
	v_cndmask_b32_e64 v7, 0xc61c4000, v5, s0
.LBB10_35:
	s_or_b32 exec_lo, exec_lo, s1
.LBB10_36:
	s_delay_alu instid0(SALU_CYCLE_1) | instskip(SKIP_2) | instid1(VALU_DEP_2)
	s_or_b32 exec_lo, exec_lo, s5
	v_cmp_gt_f32_e64 s0, v20, v25
	v_mbcnt_lo_u32_b32 v5, -1, 0
	v_cndmask_b32_e64 v3, v25, v20, s0
	s_delay_alu instid0(VALU_DEP_2) | instskip(SKIP_2) | instid1(VALU_DEP_4)
	v_xor_b32_e32 v4, 16, v5
	v_xor_b32_e32 v6, 8, v5
	;; [unrolled: 1-line block ×3, first 2 shown]
	v_cmp_gt_f32_e64 s0, v3, v22
	s_delay_alu instid0(VALU_DEP_1) | instskip(NEXT) | instid1(VALU_DEP_1)
	v_cndmask_b32_e64 v3, v22, v3, s0
	v_cmp_gt_f32_e64 s0, v3, v21
	s_delay_alu instid0(VALU_DEP_1) | instskip(NEXT) | instid1(VALU_DEP_1)
	v_cndmask_b32_e64 v3, v21, v3, s0
	;; [unrolled: 3-line block ×27, first 2 shown]
	v_cmp_gt_f32_e64 s0, v3, v11
	s_delay_alu instid0(VALU_DEP_1) | instskip(SKIP_1) | instid1(VALU_DEP_1)
	v_cndmask_b32_e64 v3, v11, v3, s0
	v_cmp_gt_i32_e64 s0, 32, v4
	v_cndmask_b32_e64 v4, v5, v4, s0
	s_delay_alu instid0(VALU_DEP_3) | instskip(NEXT) | instid1(VALU_DEP_2)
	v_cmp_gt_f32_e64 s0, v3, v8
	v_lshlrev_b32_e32 v4, 2, v4
	s_delay_alu instid0(VALU_DEP_2) | instskip(NEXT) | instid1(VALU_DEP_1)
	v_cndmask_b32_e64 v3, v8, v3, s0
	v_cmp_gt_f32_e64 s0, v3, v7
	s_delay_alu instid0(VALU_DEP_1) | instskip(SKIP_3) | instid1(VALU_DEP_1)
	v_cndmask_b32_e64 v3, v7, v3, s0
	v_cmp_gt_i32_e64 s0, 32, v6
	ds_bpermute_b32 v16, v4, v3
	v_cndmask_b32_e64 v6, v5, v6, s0
	v_lshlrev_b32_e32 v6, 2, v6
	s_waitcnt lgkmcnt(0)
	v_cmp_lt_f32_e64 s0, v3, v16
	s_delay_alu instid0(VALU_DEP_1) | instskip(SKIP_3) | instid1(VALU_DEP_1)
	v_cndmask_b32_e64 v3, v3, v16, s0
	v_xor_b32_e32 v16, 4, v5
	ds_bpermute_b32 v17, v6, v3
	v_cmp_gt_i32_e64 s0, 32, v16
	v_cndmask_b32_e64 v16, v5, v16, s0
	s_delay_alu instid0(VALU_DEP_1) | instskip(SKIP_2) | instid1(VALU_DEP_1)
	v_lshlrev_b32_e32 v16, 2, v16
	s_waitcnt lgkmcnt(0)
	v_cmp_lt_f32_e64 s0, v3, v17
	v_cndmask_b32_e64 v3, v3, v17, s0
	v_xor_b32_e32 v17, 2, v5
	ds_bpermute_b32 v18, v16, v3
	v_cmp_gt_i32_e64 s0, 32, v17
	s_delay_alu instid0(VALU_DEP_1) | instskip(NEXT) | instid1(VALU_DEP_1)
	v_cndmask_b32_e64 v17, v5, v17, s0
	v_lshlrev_b32_e32 v17, 2, v17
	s_waitcnt lgkmcnt(0)
	v_cmp_lt_f32_e64 s0, v3, v18
	s_delay_alu instid0(VALU_DEP_1) | instskip(SKIP_3) | instid1(VALU_DEP_1)
	v_cndmask_b32_e64 v3, v3, v18, s0
	v_cmp_gt_i32_e64 s0, 32, v19
	ds_bpermute_b32 v18, v17, v3
	v_cndmask_b32_e64 v5, v5, v19, s0
	v_lshlrev_b32_e32 v19, 2, v5
	s_waitcnt lgkmcnt(0)
	v_cmp_lt_f32_e64 s0, v3, v18
	s_delay_alu instid0(VALU_DEP_1) | instskip(SKIP_3) | instid1(VALU_DEP_1)
	v_cndmask_b32_e64 v3, v3, v18, s0
	ds_bpermute_b32 v5, v19, v3
	s_waitcnt lgkmcnt(0)
	v_cmp_lt_f32_e64 s0, v3, v5
	v_cndmask_b32_e64 v18, v3, v5, s0
	s_delay_alu instid0(VALU_DEP_1)
	v_sub_f32_e32 v3, v20, v18
	v_sub_f32_e32 v5, v25, v18
	;; [unrolled: 1-line block ×10, first 2 shown]
	v_dual_sub_f32 v43, v32, v18 :: v_dual_mul_f32 v32, 0x3fb8aa3b, v20
	v_dual_sub_f32 v23, v23, v18 :: v_dual_mul_f32 v36, 0x3fb8aa3b, v25
	v_sub_f32_e32 v28, v33, v18
	v_sub_f32_e32 v44, v37, v18
	;; [unrolled: 1-line block ×3, first 2 shown]
	s_delay_alu instid0(VALU_DEP_4) | instskip(NEXT) | instid1(VALU_DEP_4)
	v_dual_mul_f32 v37, 0x3fb8aa3b, v23 :: v_dual_mul_f32 v58, 0x3fb8aa3b, v48
	v_mul_f32_e32 v39, 0x3fb8aa3b, v28
	s_delay_alu instid0(VALU_DEP_4) | instskip(SKIP_1) | instid1(VALU_DEP_2)
	v_dual_sub_f32 v29, v30, v18 :: v_dual_mul_f32 v54, 0x3fb8aa3b, v44
	v_dual_mul_f32 v30, 0x3fb8aa3b, v3 :: v_dual_mul_f32 v33, 0x3fb8aa3b, v21
	v_dual_sub_f32 v27, v27, v18 :: v_dual_mul_f32 v40, 0x3fb8aa3b, v29
	v_sub_f32_e32 v46, v31, v18
	s_delay_alu instid0(VALU_DEP_3)
	v_fma_f32 v64, 0x3fb8aa3b, v3, -v30
	v_rndne_f32_e32 v65, v30
	v_sub_f32_e32 v45, v34, v18
	v_mul_f32_e32 v31, 0x3fb8aa3b, v5
	v_fma_f32 v82, 0x3fb8aa3b, v28, -v39
	v_fmac_f32_e32 v64, 0x32a5705f, v3
	v_sub_f32_e32 v30, v30, v65
	v_dual_sub_f32 v50, v35, v18 :: v_dual_mul_f32 v55, 0x3fb8aa3b, v45
	v_dual_mul_f32 v35, 0x3fb8aa3b, v24 :: v_dual_sub_f32 v42, v42, v18
	s_delay_alu instid0(VALU_DEP_3) | instskip(SKIP_1) | instid1(VALU_DEP_3)
	v_dual_mul_f32 v57, 0x3fb8aa3b, v47 :: v_dual_add_f32 v30, v30, v64
	v_dual_mul_f32 v34, 0x3fb8aa3b, v22 :: v_dual_mul_f32 v61, 0x3fb8aa3b, v51
	v_fma_f32 v74, 0x3fb8aa3b, v24, -v35
	v_rndne_f32_e32 v75, v35
	v_rndne_f32_e32 v83, v39
	s_delay_alu instid0(VALU_DEP_4) | instskip(SKIP_1) | instid1(VALU_DEP_4)
	v_fma_f32 v72, 0x3fb8aa3b, v22, -v34
	v_dual_mul_f32 v53, 0x3fb8aa3b, v43 :: v_dual_mul_f32 v62, 0x3fb8aa3b, v42
	v_sub_f32_e32 v35, v35, v75
	v_fma_f32 v66, 0x3fb8aa3b, v5, -v31
	v_rndne_f32_e32 v67, v31
	v_fma_f32 v68, 0x3fb8aa3b, v20, -v32
	v_rndne_f32_e32 v69, v32
	v_fma_f32 v70, 0x3fb8aa3b, v21, -v33
	v_rndne_f32_e32 v71, v33
	v_dual_fmac_f32 v72, 0x32a5705f, v22 :: v_dual_sub_f32 v39, v39, v83
	v_fmac_f32_e32 v82, 0x32a5705f, v28
	v_dual_fmac_f32 v74, 0x32a5705f, v24 :: v_dual_sub_f32 v49, v38, v18
	v_fmac_f32_e32 v66, 0x32a5705f, v5
	v_dual_sub_f32 v52, v41, v18 :: v_dual_mul_f32 v41, 0x3fb8aa3b, v27
	v_dual_mul_f32 v56, 0x3fb8aa3b, v46 :: v_dual_sub_f32 v31, v31, v67
	v_dual_mul_f32 v60, 0x3fb8aa3b, v50 :: v_dual_sub_f32 v33, v33, v71
	v_rndne_f32_e32 v73, v34
	v_fma_f32 v78, 0x3fb8aa3b, v23, -v37
	v_rndne_f32_e32 v79, v37
	v_fma_f32 v88, 0x3fb8aa3b, v43, -v53
	v_dual_fmac_f32 v68, 0x32a5705f, v20 :: v_dual_add_f32 v31, v31, v66
	v_dual_add_f32 v39, v39, v82 :: v_dual_fmac_f32 v70, 0x32a5705f, v21
	v_dual_add_f32 v35, v35, v74 :: v_dual_sub_f32 v32, v32, v69
	v_rndne_f32_e32 v89, v53
	v_sub_f32_e32 v37, v37, v79
	s_delay_alu instid0(VALU_DEP_4) | instskip(NEXT) | instid1(VALU_DEP_4)
	v_dual_add_f32 v33, v33, v70 :: v_dual_fmac_f32 v88, 0x32a5705f, v43
	v_add_f32_e32 v32, v32, v68
	v_fmac_f32_e32 v78, 0x32a5705f, v23
	v_sub_f32_e32 v34, v34, v73
	v_dual_mul_f32 v59, 0x3fb8aa3b, v49 :: v_dual_mul_f32 v38, 0x3fb8aa3b, v26
	v_mul_f32_e32 v63, 0x3fb8aa3b, v52
	v_fma_f32 v76, 0x3fb8aa3b, v25, -v36
	v_fma_f32 v86, 0x3fb8aa3b, v27, -v41
	v_rndne_f32_e32 v87, v41
	v_dual_add_f32 v37, v37, v78 :: v_dual_add_f32 v34, v34, v72
	v_sub_f32_e32 v53, v53, v89
	v_exp_f32_e32 v30, v30
	v_rndne_f32_e32 v77, v36
	v_fma_f32 v80, 0x3fb8aa3b, v26, -v38
	v_rndne_f32_e32 v81, v38
	v_fma_f32 v92, 0x3fb8aa3b, v45, -v55
	v_rndne_f32_e32 v64, v55
	v_dual_fmac_f32 v76, 0x32a5705f, v25 :: v_dual_sub_f32 v41, v41, v87
	v_add_f32_e32 v53, v53, v88
	v_rndne_f32_e32 v88, v61
	v_fmac_f32_e32 v86, 0x32a5705f, v27
	v_cvt_i32_f32_e32 v65, v65
	v_exp_f32_e32 v31, v31
	v_fma_f32 v84, 0x3fb8aa3b, v29, -v40
	v_rndne_f32_e32 v85, v40
	v_dual_sub_f32 v36, v36, v77 :: v_dual_add_f32 v41, v41, v86
	v_dual_fmac_f32 v80, 0x32a5705f, v26 :: v_dual_sub_f32 v55, v55, v64
	v_fma_f32 v86, 0x3fb8aa3b, v51, -v61
	v_fmac_f32_e32 v92, 0x32a5705f, v45
	v_sub_f32_e32 v38, v38, v81
	v_cvt_i32_f32_e32 v67, v67
	v_exp_f32_e32 v32, v32
	v_ldexp_f32 v30, v30, v65
	v_add_f32_e32 v55, v55, v92
	v_cmp_ngt_f32_e64 s0, 0xc2ce8ed0, v3
	v_rndne_f32_e32 v72, v57
	v_fmac_f32_e32 v84, 0x32a5705f, v29
	v_cvt_i32_f32_e32 v69, v69
	v_dual_fmac_f32 v86, 0x32a5705f, v51 :: v_dual_sub_f32 v61, v61, v88
	v_add_f32_e32 v38, v38, v80
	v_rndne_f32_e32 v80, v59
	v_sub_f32_e32 v40, v40, v85
	v_ldexp_f32 v31, v31, v67
	v_cndmask_b32_e64 v30, 0, v30, s0
	v_cmp_ngt_f32_e64 s0, 0xc2ce8ed0, v5
	v_fma_f32 v70, 0x3fb8aa3b, v47, -v57
	v_fma_f32 v78, 0x3fb8aa3b, v49, -v59
	v_sub_f32_e32 v59, v59, v80
	v_sub_f32_e32 v57, v57, v72
	v_add_f32_e32 v40, v40, v84
	v_exp_f32_e32 v33, v33
	v_exp_f32_e32 v41, v41
	v_ldexp_f32 v32, v32, v69
	v_cndmask_b32_e64 v31, 0, v31, s0
	v_cmp_ngt_f32_e64 s0, 0xc2ce8ed0, v20
	v_cvt_i32_f32_e32 v71, v71
	v_cvt_i32_f32_e32 v87, v87
	v_exp_f32_e32 v40, v40
	v_cvt_i32_f32_e32 v85, v85
	v_cndmask_b32_e64 v32, 0, v32, s0
	v_cmp_nlt_f32_e64 s0, 0x42b17218, v3
	v_fmac_f32_e32 v70, 0x32a5705f, v47
	v_ldexp_f32 v33, v33, v71
	v_ldexp_f32 v71, v41, v87
	v_add_f32_e32 v36, v36, v76
	v_cndmask_b32_e64 v41, 0x7f800000, v30, s0
	v_add_f32_e32 v57, v57, v70
	v_cmp_nlt_f32_e64 s0, 0x42b17218, v5
	v_exp_f32_e32 v34, v34
	v_exp_f32_e32 v39, v39
	v_ldexp_f32 v70, v40, v85
	v_cvt_i32_f32_e32 v73, v73
	v_cndmask_b32_e64 v40, 0x7f800000, v31, s0
	v_cmp_ngt_f32_e64 s0, 0xc2ce8ed0, v21
	v_cvt_i32_f32_e32 v83, v83
	v_add_f32_e32 v61, v61, v86
	v_exp_f32_e32 v35, v35
	v_exp_f32_e32 v38, v38
	v_cndmask_b32_e64 v3, 0, v33, s0
	v_cmp_nlt_f32_e64 s0, 0x42b17218, v20
	v_ldexp_f32 v34, v34, v73
	v_ldexp_f32 v69, v39, v83
	v_cvt_i32_f32_e32 v75, v75
	v_cvt_i32_f32_e32 v81, v81
	v_cndmask_b32_e64 v39, 0x7f800000, v32, s0
	v_cmp_ngt_f32_e64 s0, 0xc2ce8ed0, v22
	v_exp_f32_e32 v36, v36
	v_exp_f32_e32 v37, v37
	v_ldexp_f32 v35, v35, v75
	v_ldexp_f32 v67, v38, v81
	v_cndmask_b32_e64 v20, 0, v34, s0
	v_cmp_nlt_f32_e64 s0, 0x42b17218, v21
	v_add_f32_e32 v5, v41, v40
	v_cvt_i32_f32_e32 v77, v77
	v_cvt_i32_f32_e32 v79, v79
	v_fma_f32 v90, 0x3fb8aa3b, v44, -v54
	v_cndmask_b32_e64 v38, 0x7f800000, v3, s0
	v_cmp_ngt_f32_e64 s0, 0xc2ce8ed0, v24
	v_add_f32_e32 v3, v5, v39
	v_ldexp_f32 v36, v36, v77
	v_ldexp_f32 v65, v37, v79
	v_rndne_f32_e32 v91, v54
	v_cndmask_b32_e64 v5, 0, v35, s0
	v_cmp_nlt_f32_e64 s0, 0x42b17218, v22
	v_dual_fmac_f32 v90, 0x32a5705f, v44 :: v_dual_add_f32 v3, v3, v38
	v_fma_f32 v66, 0x3fb8aa3b, v46, -v56
	v_rndne_f32_e32 v68, v56
	s_delay_alu instid0(VALU_DEP_4)
	v_cndmask_b32_e64 v37, 0x7f800000, v20, s0
	v_cmp_ngt_f32_e64 s0, 0xc2ce8ed0, v25
	v_sub_f32_e32 v54, v54, v91
	v_exp_f32_e32 v53, v53
	v_cvt_i32_f32_e32 v89, v89
	v_add_f32_e32 v3, v3, v37
	v_cndmask_b32_e64 v20, 0, v36, s0
	v_cmp_nlt_f32_e64 s0, 0x42b17218, v24
	v_cvt_i32_f32_e32 v91, v91
	v_exp_f32_e32 v55, v55
	v_cvt_i32_f32_e32 v64, v64
	v_fma_f32 v74, 0x3fb8aa3b, v48, -v58
	v_cndmask_b32_e64 v36, 0x7f800000, v5, s0
	v_cmp_ngt_f32_e64 s0, 0xc2ce8ed0, v23
	v_ldexp_f32 v53, v53, v89
	v_rndne_f32_e32 v76, v58
	v_exp_f32_e32 v57, v57
	v_add_f32_e32 v3, v3, v36
	v_cndmask_b32_e64 v5, 0, v65, s0
	v_cmp_nlt_f32_e64 s0, 0x42b17218, v25
	v_ldexp_f32 v55, v55, v64
	v_cvt_i32_f32_e32 v72, v72
	v_fma_f32 v82, 0x3fb8aa3b, v50, -v60
	v_rndne_f32_e32 v84, v60
	v_cndmask_b32_e64 v35, 0x7f800000, v20, s0
	v_cmp_ngt_f32_e64 s0, 0xc2ce8ed0, v26
	v_fmac_f32_e32 v66, 0x32a5705f, v46
	v_ldexp_f32 v57, v57, v72
	v_cvt_i32_f32_e32 v80, v80
	v_add_f32_e32 v3, v3, v35
	v_cndmask_b32_e64 v20, 0, v67, s0
	v_cmp_nlt_f32_e64 s0, 0x42b17218, v23
	v_sub_f32_e32 v12, v12, v18
	v_exp_f32_e32 v61, v61
	v_cvt_i32_f32_e32 v88, v88
	v_rndne_f32_e32 v92, v62
	v_cndmask_b32_e64 v34, 0x7f800000, v5, s0
	v_cmp_ngt_f32_e64 s0, 0xc2ce8ed0, v28
	v_sub_f32_e32 v56, v56, v68
	v_cvt_i32_f32_e32 v68, v68
	v_sub_f32_e32 v11, v11, v18
	v_add_f32_e32 v3, v3, v34
	v_cndmask_b32_e64 v5, 0, v69, s0
	v_cmp_nlt_f32_e64 s0, 0x42b17218, v26
	v_ldexp_f32 v21, v61, v88
	s_delay_alu instid0(VALU_DEP_2) | instskip(SKIP_3) | instid1(VALU_DEP_4)
	v_cndmask_b32_e64 v33, 0x7f800000, v20, s0
	v_cmp_ngt_f32_e64 s0, 0xc2ce8ed0, v29
	v_add_f32_e32 v54, v54, v90
	v_fma_f32 v90, 0x3fb8aa3b, v42, -v62
	v_add_f32_e32 v3, v3, v33
	s_delay_alu instid0(VALU_DEP_4) | instskip(SKIP_2) | instid1(VALU_DEP_1)
	v_cndmask_b32_e64 v20, 0, v70, s0
	v_cmp_nlt_f32_e64 s0, 0x42b17218, v28
	v_exp_f32_e32 v54, v54
	v_cndmask_b32_e64 v32, 0x7f800000, v5, s0
	v_cmp_ngt_f32_e64 s0, 0xc2ce8ed0, v27
	v_add_f32_e32 v56, v56, v66
	v_fma_f32 v66, 0x3fb8aa3b, v52, -v63
	s_delay_alu instid0(VALU_DEP_4) | instskip(NEXT) | instid1(VALU_DEP_4)
	v_add_f32_e32 v3, v3, v32
	v_cndmask_b32_e64 v5, 0, v71, s0
	v_cmp_nlt_f32_e64 s0, 0x42b17218, v29
	s_delay_alu instid0(TRANS32_DEP_1) | instskip(SKIP_2) | instid1(VALU_DEP_3)
	v_ldexp_f32 v54, v54, v91
	v_exp_f32_e32 v56, v56
	v_fmac_f32_e32 v66, 0x32a5705f, v52
	v_cndmask_b32_e64 v31, 0x7f800000, v20, s0
	v_cmp_ngt_f32_e64 s0, 0xc2ce8ed0, v43
	s_delay_alu instid0(VALU_DEP_2) | instskip(NEXT) | instid1(VALU_DEP_2)
	v_dual_fmac_f32 v74, 0x32a5705f, v48 :: v_dual_add_f32 v3, v3, v31
	v_cndmask_b32_e64 v20, 0, v53, s0
	v_cmp_nlt_f32_e64 s0, 0x42b17218, v27
	s_delay_alu instid0(TRANS32_DEP_1) | instskip(NEXT) | instid1(VALU_DEP_2)
	v_ldexp_f32 v56, v56, v68
	v_cndmask_b32_e64 v30, 0x7f800000, v5, s0
	v_cmp_ngt_f32_e64 s0, 0xc2ce8ed0, v44
	s_delay_alu instid0(VALU_DEP_2) | instskip(NEXT) | instid1(VALU_DEP_2)
	v_add_f32_e32 v3, v3, v30
	v_cndmask_b32_e64 v5, 0, v54, s0
	v_cmp_nlt_f32_e64 s0, 0x42b17218, v43
	s_delay_alu instid0(VALU_DEP_1) | instskip(SKIP_3) | instid1(VALU_DEP_4)
	v_cndmask_b32_e64 v29, 0x7f800000, v20, s0
	v_cmp_ngt_f32_e64 s0, 0xc2ce8ed0, v45
	v_sub_f32_e32 v58, v58, v76
	v_cvt_i32_f32_e32 v76, v76
	v_add_f32_e32 v3, v3, v29
	s_delay_alu instid0(VALU_DEP_4) | instskip(SKIP_3) | instid1(VALU_DEP_3)
	v_cndmask_b32_e64 v20, 0, v55, s0
	v_cmp_nlt_f32_e64 s0, 0x42b17218, v44
	v_add_f32_e32 v58, v58, v74
	v_cvt_i32_f32_e32 v44, v92
	v_cndmask_b32_e64 v28, 0x7f800000, v5, s0
	v_cmp_ngt_f32_e64 s0, 0xc2ce8ed0, v46
	v_fmac_f32_e32 v78, 0x32a5705f, v49
	v_exp_f32_e32 v58, v58
	s_delay_alu instid0(VALU_DEP_3) | instskip(NEXT) | instid1(VALU_DEP_3)
	v_add_f32_e32 v3, v3, v28
	v_cndmask_b32_e64 v5, 0, v56, s0
	v_cmp_nlt_f32_e64 s0, 0x42b17218, v45
	v_add_f32_e32 v59, v59, v78
	v_mul_f32_e32 v45, 0x3fb8aa3b, v12
	s_delay_alu instid0(VALU_DEP_3)
	v_cndmask_b32_e64 v27, 0x7f800000, v20, s0
	v_cmp_ngt_f32_e64 s0, 0xc2ce8ed0, v47
	v_fmac_f32_e32 v82, 0x32a5705f, v50
	v_exp_f32_e32 v59, v59
	v_ldexp_f32 v58, v58, v76
	v_add_f32_e32 v3, v3, v27
	v_cndmask_b32_e64 v20, 0, v57, s0
	v_cmp_nlt_f32_e64 s0, 0x42b17218, v46
	v_rndne_f32_e32 v46, v45
	s_delay_alu instid0(VALU_DEP_2) | instskip(SKIP_2) | instid1(TRANS32_DEP_1)
	v_cndmask_b32_e64 v26, 0x7f800000, v5, s0
	v_sub_f32_e32 v60, v60, v84
	v_cmp_ngt_f32_e64 s0, 0xc2ce8ed0, v48
	v_ldexp_f32 v59, v59, v80
	v_cvt_i32_f32_e32 v84, v84
	v_add_f32_e32 v3, v3, v26
	v_add_f32_e32 v60, v60, v82
	v_cndmask_b32_e64 v5, 0, v58, s0
	v_cmp_nlt_f32_e64 s0, 0x42b17218, v47
	s_delay_alu instid0(VALU_DEP_3) | instskip(NEXT) | instid1(VALU_DEP_1)
	v_exp_f32_e32 v60, v60
	v_cndmask_b32_e64 v25, 0x7f800000, v20, s0
	v_cmp_ngt_f32_e64 s0, 0xc2ce8ed0, v49
	s_delay_alu instid0(VALU_DEP_2) | instskip(NEXT) | instid1(VALU_DEP_2)
	v_add_f32_e32 v3, v3, v25
	v_cndmask_b32_e64 v20, 0, v59, s0
	v_cmp_nlt_f32_e64 s0, 0x42b17218, v48
	s_waitcnt_depctr 0xfff
	v_ldexp_f32 v60, v60, v84
	v_cndmask_b32_e64 v24, 0x7f800000, v5, s0
	v_cmp_ngt_f32_e64 s0, 0xc2ce8ed0, v50
	s_delay_alu instid0(VALU_DEP_2) | instskip(NEXT) | instid1(VALU_DEP_2)
	v_dual_fmac_f32 v90, 0x32a5705f, v42 :: v_dual_add_f32 v3, v3, v24
	v_cndmask_b32_e64 v5, 0, v60, s0
	v_cmp_nlt_f32_e64 s0, 0x42b17218, v49
	v_sub_f32_e32 v49, v13, v18
	s_delay_alu instid0(VALU_DEP_2) | instskip(SKIP_1) | instid1(VALU_DEP_2)
	v_cndmask_b32_e64 v23, 0x7f800000, v20, s0
	v_cmp_nlt_f32_e64 s0, 0x42b17218, v50
	v_dual_sub_f32 v62, v62, v92 :: v_dual_add_f32 v3, v3, v23
	s_delay_alu instid0(VALU_DEP_2) | instskip(SKIP_2) | instid1(VALU_DEP_3)
	v_cndmask_b32_e64 v22, 0x7f800000, v5, s0
	v_cmp_ngt_f32_e64 s0, 0xc2ce8ed0, v51
	v_rndne_f32_e32 v5, v63
	v_add_f32_e32 v3, v3, v22
	s_delay_alu instid0(VALU_DEP_3) | instskip(SKIP_1) | instid1(VALU_DEP_4)
	v_cndmask_b32_e64 v21, 0, v21, s0
	v_cmp_nlt_f32_e64 s0, 0x42b17218, v51
	v_sub_f32_e32 v43, v63, v5
	v_cvt_i32_f32_e32 v5, v5
	s_delay_alu instid0(VALU_DEP_3) | instskip(SKIP_2) | instid1(VALU_DEP_3)
	v_cndmask_b32_e64 v21, 0x7f800000, v21, s0
	v_add_f32_e32 v20, v62, v90
	v_cmp_ngt_f32_e64 s0, 0xc2ce8ed0, v42
	v_add_f32_e32 v3, v3, v21
	s_delay_alu instid0(VALU_DEP_3) | instskip(SKIP_2) | instid1(VALU_DEP_1)
	v_exp_f32_e32 v20, v20
	s_waitcnt_depctr 0xfff
	v_ldexp_f32 v20, v20, v44
	v_cndmask_b32_e64 v20, 0, v20, s0
	v_cmp_nlt_f32_e64 s0, 0x42b17218, v42
	s_delay_alu instid0(VALU_DEP_1) | instskip(SKIP_1) | instid1(VALU_DEP_2)
	v_cndmask_b32_e64 v20, 0x7f800000, v20, s0
	v_cmp_ngt_f32_e64 s0, 0xc2ce8ed0, v52
	v_add_f32_e32 v3, v3, v20
	v_fma_f32 v44, 0x3fb8aa3b, v12, -v45
	s_delay_alu instid0(VALU_DEP_1) | instskip(NEXT) | instid1(VALU_DEP_1)
	v_dual_add_f32 v43, v43, v66 :: v_dual_fmac_f32 v44, 0x32a5705f, v12
	v_exp_f32_e32 v43, v43
	s_waitcnt_depctr 0xfff
	v_ldexp_f32 v5, v43, v5
	v_sub_f32_e32 v43, v14, v18
	v_sub_f32_e32 v45, v45, v46
	s_delay_alu instid0(VALU_DEP_3) | instskip(SKIP_1) | instid1(VALU_DEP_3)
	v_cndmask_b32_e64 v5, 0, v5, s0
	v_cmp_nlt_f32_e64 s0, 0x42b17218, v52
	v_dual_add_f32 v42, v45, v44 :: v_dual_sub_f32 v45, v15, v18
	v_mul_f32_e32 v44, 0x3fb8aa3b, v43
	s_delay_alu instid0(VALU_DEP_3) | instskip(NEXT) | instid1(VALU_DEP_3)
	v_cndmask_b32_e64 v14, 0x7f800000, v5, s0
	v_exp_f32_e32 v42, v42
	v_cvt_i32_f32_e32 v5, v46
	s_delay_alu instid0(VALU_DEP_3)
	v_rndne_f32_e32 v46, v44
	v_mul_f32_e32 v47, 0x3fb8aa3b, v45
	v_fma_f32 v15, 0x3fb8aa3b, v43, -v44
	v_cmp_ngt_f32_e64 s0, 0xc2ce8ed0, v12
	s_waitcnt_depctr 0xfff
	v_ldexp_f32 v5, v42, v5
	v_sub_f32_e32 v42, v44, v46
	v_fma_f32 v44, 0x3fb8aa3b, v45, -v47
	v_rndne_f32_e32 v48, v47
	s_delay_alu instid0(VALU_DEP_4) | instskip(SKIP_1) | instid1(VALU_DEP_4)
	v_cndmask_b32_e64 v5, 0, v5, s0
	v_cmp_nlt_f32_e64 s0, 0x42b17218, v12
	v_dual_fmac_f32 v44, 0x32a5705f, v45 :: v_dual_fmac_f32 v15, 0x32a5705f, v43
	s_delay_alu instid0(VALU_DEP_1)
	v_dual_add_f32 v13, v42, v15 :: v_dual_sub_f32 v42, v47, v48
	v_mul_f32_e32 v47, 0x3fb8aa3b, v49
	v_add_f32_e32 v3, v3, v14
	v_cndmask_b32_e64 v15, 0x7f800000, v5, s0
	v_cmp_ngt_f32_e64 s0, 0xc2ce8ed0, v43
	v_add_f32_e32 v12, v42, v44
	v_sub_f32_e32 v44, v10, v18
	v_rndne_f32_e32 v42, v47
	v_cvt_i32_f32_e32 v10, v46
	v_add_f32_e32 v3, v3, v15
	v_exp_f32_e32 v12, v12
	s_delay_alu instid0(VALU_DEP_3) | instskip(SKIP_3) | instid1(VALU_DEP_2)
	v_sub_f32_e32 v46, v47, v42
	v_exp_f32_e32 v5, v13
	v_fma_f32 v13, 0x3fb8aa3b, v49, -v47
	v_mul_f32_e32 v47, 0x3fb8aa3b, v44
	v_fmac_f32_e32 v13, 0x32a5705f, v49
	s_waitcnt_depctr 0xfff
	v_ldexp_f32 v5, v5, v10
	v_cvt_i32_f32_e32 v10, v48
	v_rndne_f32_e32 v48, v47
	s_delay_alu instid0(VALU_DEP_3)
	v_cndmask_b32_e64 v5, 0, v5, s0
	v_cmp_nlt_f32_e64 s0, 0x42b17218, v43
	v_sub_f32_e32 v43, v9, v18
	v_add_f32_e32 v13, v46, v13
	v_fma_f32 v46, 0x3fb8aa3b, v44, -v47
	v_ldexp_f32 v10, v12, v10
	v_sub_f32_e32 v47, v47, v48
	v_cvt_i32_f32_e32 v9, v48
	v_exp_f32_e32 v12, v13
	v_cndmask_b32_e64 v13, 0x7f800000, v5, s0
	v_cmp_ngt_f32_e64 s0, 0xc2ce8ed0, v45
	v_fmac_f32_e32 v46, 0x32a5705f, v44
	v_cvt_i32_f32_e32 v5, v42
	v_sub_f32_e32 v48, v7, v18
	s_delay_alu instid0(VALU_DEP_4) | instskip(SKIP_2) | instid1(TRANS32_DEP_1)
	v_cndmask_b32_e64 v10, 0, v10, s0
	v_cmp_nlt_f32_e64 s0, 0x42b17218, v45
	v_add_f32_e32 v42, v47, v46
	v_ldexp_f32 v5, v12, v5
	v_dual_sub_f32 v46, v8, v18 :: v_dual_add_f32 v3, v3, v13
	v_mul_f32_e32 v50, 0x3fb8aa3b, v48
	v_cndmask_b32_e64 v12, 0x7f800000, v10, s0
	v_cmp_ngt_f32_e64 s0, 0xc2ce8ed0, v49
	v_exp_f32_e32 v42, v42
	v_mul_f32_e32 v47, 0x3fb8aa3b, v46
	v_rndne_f32_e32 v51, v50
	s_delay_alu instid0(VALU_DEP_3) | instskip(SKIP_1) | instid1(VALU_DEP_4)
	v_cndmask_b32_e64 v5, 0, v5, s0
	v_cmp_nlt_f32_e64 s0, 0x42b17218, v49
	v_rndne_f32_e32 v49, v47
	s_delay_alu instid0(VALU_DEP_2) | instskip(SKIP_1) | instid1(TRANS32_DEP_1)
	v_cndmask_b32_e64 v10, 0x7f800000, v5, s0
	v_mul_f32_e32 v5, 0x3fb8aa3b, v43
	v_ldexp_f32 v9, v42, v9
	v_cmp_ngt_f32_e64 s0, 0xc2ce8ed0, v44
	s_delay_alu instid0(VALU_DEP_3) | instskip(SKIP_1) | instid1(VALU_DEP_3)
	v_fma_f32 v42, 0x3fb8aa3b, v43, -v5
	v_rndne_f32_e32 v45, v5
	v_cndmask_b32_e64 v9, 0, v9, s0
	v_cmp_nlt_f32_e64 s0, 0x42b17218, v44
	v_mul_f32_e32 v44, 0x3fb8aa3b, v11
	s_delay_alu instid0(VALU_DEP_4) | instskip(SKIP_1) | instid1(VALU_DEP_4)
	v_dual_fmac_f32 v42, 0x32a5705f, v43 :: v_dual_sub_f32 v5, v5, v45
	v_cvt_i32_f32_e32 v45, v45
	v_cndmask_b32_e64 v9, 0x7f800000, v9, s0
	s_delay_alu instid0(VALU_DEP_4) | instskip(NEXT) | instid1(VALU_DEP_4)
	v_fma_f32 v8, 0x3fb8aa3b, v11, -v44
	v_add_f32_e32 v5, v5, v42
	v_rndne_f32_e32 v42, v44
	s_delay_alu instid0(VALU_DEP_3) | instskip(NEXT) | instid1(VALU_DEP_3)
	v_fmac_f32_e32 v8, 0x32a5705f, v11
	v_exp_f32_e32 v5, v5
	s_delay_alu instid0(VALU_DEP_2) | instskip(SKIP_3) | instid1(VALU_DEP_3)
	v_sub_f32_e32 v7, v44, v42
	v_fma_f32 v44, 0x3fb8aa3b, v46, -v47
	v_add_f32_e32 v3, v3, v12
	v_cvt_i32_f32_e32 v42, v42
	v_dual_add_f32 v7, v7, v8 :: v_dual_fmac_f32 v44, 0x32a5705f, v46
	v_sub_f32_e32 v8, v47, v49
	v_cmp_ngt_f32_e64 s0, 0xc2ce8ed0, v43
	s_delay_alu instid0(TRANS32_DEP_1) | instskip(NEXT) | instid1(VALU_DEP_4)
	v_ldexp_f32 v5, v5, v45
	v_exp_f32_e32 v7, v7
	s_delay_alu instid0(VALU_DEP_3) | instskip(SKIP_1) | instid1(VALU_DEP_3)
	v_dual_add_f32 v3, v3, v10 :: v_dual_add_f32 v8, v8, v44
	v_fma_f32 v47, 0x3fb8aa3b, v48, -v50
	v_cndmask_b32_e64 v5, 0, v5, s0
	v_cmp_nlt_f32_e64 s0, 0x42b17218, v43
	v_sub_f32_e32 v44, v50, v51
	v_exp_f32_e32 v45, v8
	v_fmac_f32_e32 v47, 0x32a5705f, v48
	v_add_f32_e32 v3, v3, v9
	s_delay_alu instid0(TRANS32_DEP_2)
	v_ldexp_f32 v7, v7, v42
	v_cndmask_b32_e64 v8, 0x7f800000, v5, s0
	v_cmp_ngt_f32_e64 s0, 0xc2ce8ed0, v11
	v_add_f32_e32 v44, v44, v47
	v_cvt_i32_f32_e32 v5, v49
	v_cvt_i32_f32_e32 v43, v51
	v_add_f32_e32 v3, v3, v8
	v_cndmask_b32_e64 v7, 0, v7, s0
	v_cmp_nlt_f32_e64 s0, 0x42b17218, v11
	v_exp_f32_e32 v42, v44
	v_ldexp_f32 v5, v45, v5
	s_delay_alu instid0(VALU_DEP_2) | instskip(SKIP_1) | instid1(VALU_DEP_2)
	v_cndmask_b32_e64 v7, 0x7f800000, v7, s0
	v_cmp_ngt_f32_e64 s0, 0xc2ce8ed0, v46
	v_add_f32_e32 v3, v3, v7
	s_delay_alu instid0(VALU_DEP_2) | instskip(SKIP_1) | instid1(TRANS32_DEP_1)
	v_cndmask_b32_e64 v5, 0, v5, s0
	v_cmp_nlt_f32_e64 s0, 0x42b17218, v46
	v_ldexp_f32 v11, v42, v43
	s_delay_alu instid0(VALU_DEP_2) | instskip(SKIP_1) | instid1(VALU_DEP_2)
	v_cndmask_b32_e64 v5, 0x7f800000, v5, s0
	v_cmp_ngt_f32_e64 s0, 0xc2ce8ed0, v48
	v_add_f32_e32 v42, v3, v5
	s_delay_alu instid0(VALU_DEP_2) | instskip(SKIP_1) | instid1(VALU_DEP_1)
	v_cndmask_b32_e64 v11, 0, v11, s0
	v_cmp_nlt_f32_e64 s0, 0x42b17218, v48
	v_cndmask_b32_e64 v3, 0x7f800000, v11, s0
	v_cmp_gt_i32_e64 s0, s6, v0
	s_delay_alu instid0(VALU_DEP_2) | instskip(NEXT) | instid1(VALU_DEP_2)
	v_add_f32_e32 v11, v42, v3
	s_and_b32 s0, vcc_lo, s0
	ds_bpermute_b32 v4, v4, v11
	s_waitcnt lgkmcnt(0)
	v_add_f32_e32 v4, v11, v4
	ds_bpermute_b32 v6, v6, v4
	s_waitcnt lgkmcnt(0)
	v_add_f32_e32 v4, v4, v6
	;; [unrolled: 3-line block ×4, first 2 shown]
	ds_bpermute_b32 v6, v19, v4
	s_and_saveexec_b32 s1, s0
	s_cbranch_execz .LBB10_109
; %bb.37:
	v_cmp_neq_f32_e64 s0, 0xc61c4000, v18
	s_waitcnt lgkmcnt(0)
	v_dual_add_f32 v4, v4, v6 :: v_dual_mov_b32 v11, 0
	v_mov_b32_e32 v6, 0
	s_delay_alu instid0(VALU_DEP_3)
	s_and_saveexec_b32 s1, s0
	s_cbranch_execz .LBB10_39
; %bb.38:
	s_delay_alu instid0(VALU_DEP_2) | instskip(NEXT) | instid1(VALU_DEP_1)
	v_div_scale_f32 v11, null, v4, v4, v41
	v_rcp_f32_e32 v16, v11
	s_waitcnt_depctr 0xfff
	v_fma_f32 v17, -v11, v16, 1.0
	s_delay_alu instid0(VALU_DEP_1) | instskip(SKIP_1) | instid1(VALU_DEP_1)
	v_fmac_f32_e32 v16, v17, v16
	v_div_scale_f32 v17, vcc_lo, v41, v4, v41
	v_mul_f32_e32 v18, v17, v16
	s_delay_alu instid0(VALU_DEP_1) | instskip(NEXT) | instid1(VALU_DEP_1)
	v_fma_f32 v19, -v11, v18, v17
	v_fmac_f32_e32 v18, v19, v16
	s_delay_alu instid0(VALU_DEP_1) | instskip(NEXT) | instid1(VALU_DEP_1)
	v_fma_f32 v11, -v11, v18, v17
	v_div_fmas_f32 v11, v11, v16, v18
	s_delay_alu instid0(VALU_DEP_1) | instskip(NEXT) | instid1(VALU_DEP_1)
	v_div_fixup_f32 v11, v11, v4, v41
	v_cvt_f16_f32_e32 v11, v11
.LBB10_39:
	s_or_b32 exec_lo, exec_lo, s1
	s_and_saveexec_b32 s1, s0
	s_cbranch_execz .LBB10_41
; %bb.40:
	v_div_scale_f32 v6, null, v4, v4, v40
	s_delay_alu instid0(VALU_DEP_1) | instskip(SKIP_2) | instid1(VALU_DEP_1)
	v_rcp_f32_e32 v16, v6
	s_waitcnt_depctr 0xfff
	v_fma_f32 v17, -v6, v16, 1.0
	v_fmac_f32_e32 v16, v17, v16
	v_div_scale_f32 v17, vcc_lo, v40, v4, v40
	s_delay_alu instid0(VALU_DEP_1) | instskip(NEXT) | instid1(VALU_DEP_1)
	v_mul_f32_e32 v18, v17, v16
	v_fma_f32 v19, -v6, v18, v17
	s_delay_alu instid0(VALU_DEP_1) | instskip(NEXT) | instid1(VALU_DEP_1)
	v_fmac_f32_e32 v18, v19, v16
	v_fma_f32 v6, -v6, v18, v17
	s_delay_alu instid0(VALU_DEP_1) | instskip(NEXT) | instid1(VALU_DEP_1)
	v_div_fmas_f32 v6, v6, v16, v18
	v_div_fixup_f32 v6, v6, v4, v40
	s_delay_alu instid0(VALU_DEP_1)
	v_cvt_f16_f32_e32 v6, v6
.LBB10_41:
	s_or_b32 exec_lo, exec_lo, s1
	v_dual_mov_b32 v16, 0 :: v_dual_mov_b32 v17, 0
	s_and_saveexec_b32 s1, s0
	s_cbranch_execz .LBB10_43
; %bb.42:
	v_div_scale_f32 v17, null, v4, v4, v39
	s_delay_alu instid0(VALU_DEP_1) | instskip(SKIP_2) | instid1(VALU_DEP_1)
	v_rcp_f32_e32 v18, v17
	s_waitcnt_depctr 0xfff
	v_fma_f32 v19, -v17, v18, 1.0
	v_fmac_f32_e32 v18, v19, v18
	v_div_scale_f32 v19, vcc_lo, v39, v4, v39
	s_delay_alu instid0(VALU_DEP_1) | instskip(NEXT) | instid1(VALU_DEP_1)
	v_mul_f32_e32 v40, v19, v18
	v_fma_f32 v41, -v17, v40, v19
	s_delay_alu instid0(VALU_DEP_1) | instskip(NEXT) | instid1(VALU_DEP_1)
	v_fmac_f32_e32 v40, v41, v18
	v_fma_f32 v17, -v17, v40, v19
	s_delay_alu instid0(VALU_DEP_1) | instskip(NEXT) | instid1(VALU_DEP_1)
	v_div_fmas_f32 v17, v17, v18, v40
	v_div_fixup_f32 v17, v17, v4, v39
	s_delay_alu instid0(VALU_DEP_1)
	v_cvt_f16_f32_e32 v17, v17
.LBB10_43:
	s_or_b32 exec_lo, exec_lo, s1
	s_and_saveexec_b32 s1, s0
	s_cbranch_execz .LBB10_45
; %bb.44:
	v_div_scale_f32 v16, null, v4, v4, v38
	s_delay_alu instid0(VALU_DEP_1) | instskip(SKIP_2) | instid1(VALU_DEP_1)
	v_rcp_f32_e32 v18, v16
	s_waitcnt_depctr 0xfff
	v_fma_f32 v19, -v16, v18, 1.0
	v_fmac_f32_e32 v18, v19, v18
	v_div_scale_f32 v19, vcc_lo, v38, v4, v38
	s_delay_alu instid0(VALU_DEP_1) | instskip(NEXT) | instid1(VALU_DEP_1)
	v_mul_f32_e32 v39, v19, v18
	v_fma_f32 v40, -v16, v39, v19
	s_delay_alu instid0(VALU_DEP_1) | instskip(NEXT) | instid1(VALU_DEP_1)
	v_fmac_f32_e32 v39, v40, v18
	v_fma_f32 v16, -v16, v39, v19
	s_delay_alu instid0(VALU_DEP_1) | instskip(NEXT) | instid1(VALU_DEP_1)
	v_div_fmas_f32 v16, v16, v18, v39
	v_div_fixup_f32 v16, v16, v4, v38
	s_delay_alu instid0(VALU_DEP_1)
	v_cvt_f16_f32_e32 v16, v16
.LBB10_45:
	s_or_b32 exec_lo, exec_lo, s1
	v_add_nc_u32_e32 v18, 0x80, v0
	v_add_co_u32 v1, vcc_lo, s8, v1
	v_add_co_ci_u32_e32 v2, vcc_lo, s9, v2, vcc_lo
	v_perm_b32 v17, v16, v17, 0x5040100
	v_perm_b32 v16, v6, v11, 0x5040100
	v_cmp_gt_u32_e32 vcc_lo, s6, v18
	global_store_b64 v[1:2], v[16:17], off
	s_and_b32 exec_lo, exec_lo, vcc_lo
	s_cbranch_execz .LBB10_109
; %bb.46:
	v_dual_mov_b32 v6, 0 :: v_dual_mov_b32 v11, 0
	s_and_saveexec_b32 s1, s0
	s_cbranch_execz .LBB10_48
; %bb.47:
	v_div_scale_f32 v11, null, v4, v4, v37
	s_delay_alu instid0(VALU_DEP_1) | instskip(SKIP_2) | instid1(VALU_DEP_1)
	v_rcp_f32_e32 v16, v11
	s_waitcnt_depctr 0xfff
	v_fma_f32 v17, -v11, v16, 1.0
	v_fmac_f32_e32 v16, v17, v16
	v_div_scale_f32 v17, vcc_lo, v37, v4, v37
	s_delay_alu instid0(VALU_DEP_1) | instskip(NEXT) | instid1(VALU_DEP_1)
	v_mul_f32_e32 v18, v17, v16
	v_fma_f32 v19, -v11, v18, v17
	s_delay_alu instid0(VALU_DEP_1) | instskip(NEXT) | instid1(VALU_DEP_1)
	v_fmac_f32_e32 v18, v19, v16
	v_fma_f32 v11, -v11, v18, v17
	s_delay_alu instid0(VALU_DEP_1) | instskip(NEXT) | instid1(VALU_DEP_1)
	v_div_fmas_f32 v11, v11, v16, v18
	v_div_fixup_f32 v11, v11, v4, v37
	s_delay_alu instid0(VALU_DEP_1)
	v_cvt_f16_f32_e32 v11, v11
.LBB10_48:
	s_or_b32 exec_lo, exec_lo, s1
	s_and_saveexec_b32 s1, s0
	s_cbranch_execz .LBB10_50
; %bb.49:
	v_div_scale_f32 v6, null, v4, v4, v36
	s_delay_alu instid0(VALU_DEP_1) | instskip(SKIP_2) | instid1(VALU_DEP_1)
	v_rcp_f32_e32 v16, v6
	s_waitcnt_depctr 0xfff
	v_fma_f32 v17, -v6, v16, 1.0
	v_fmac_f32_e32 v16, v17, v16
	v_div_scale_f32 v17, vcc_lo, v36, v4, v36
	s_delay_alu instid0(VALU_DEP_1) | instskip(NEXT) | instid1(VALU_DEP_1)
	v_mul_f32_e32 v18, v17, v16
	v_fma_f32 v19, -v6, v18, v17
	s_delay_alu instid0(VALU_DEP_1) | instskip(NEXT) | instid1(VALU_DEP_1)
	v_fmac_f32_e32 v18, v19, v16
	v_fma_f32 v6, -v6, v18, v17
	s_delay_alu instid0(VALU_DEP_1) | instskip(NEXT) | instid1(VALU_DEP_1)
	v_div_fmas_f32 v6, v6, v16, v18
	v_div_fixup_f32 v6, v6, v4, v36
	s_delay_alu instid0(VALU_DEP_1)
	v_cvt_f16_f32_e32 v6, v6
.LBB10_50:
	s_or_b32 exec_lo, exec_lo, s1
	v_dual_mov_b32 v16, 0 :: v_dual_mov_b32 v17, 0
	s_and_saveexec_b32 s1, s0
	s_cbranch_execz .LBB10_52
; %bb.51:
	v_div_scale_f32 v17, null, v4, v4, v35
	s_delay_alu instid0(VALU_DEP_1) | instskip(SKIP_2) | instid1(VALU_DEP_1)
	v_rcp_f32_e32 v18, v17
	s_waitcnt_depctr 0xfff
	v_fma_f32 v19, -v17, v18, 1.0
	v_fmac_f32_e32 v18, v19, v18
	v_div_scale_f32 v19, vcc_lo, v35, v4, v35
	s_delay_alu instid0(VALU_DEP_1) | instskip(NEXT) | instid1(VALU_DEP_1)
	v_mul_f32_e32 v36, v19, v18
	v_fma_f32 v37, -v17, v36, v19
	s_delay_alu instid0(VALU_DEP_1) | instskip(NEXT) | instid1(VALU_DEP_1)
	v_fmac_f32_e32 v36, v37, v18
	v_fma_f32 v17, -v17, v36, v19
	s_delay_alu instid0(VALU_DEP_1) | instskip(NEXT) | instid1(VALU_DEP_1)
	v_div_fmas_f32 v17, v17, v18, v36
	v_div_fixup_f32 v17, v17, v4, v35
	s_delay_alu instid0(VALU_DEP_1)
	v_cvt_f16_f32_e32 v17, v17
.LBB10_52:
	s_or_b32 exec_lo, exec_lo, s1
	s_and_saveexec_b32 s1, s0
	s_cbranch_execz .LBB10_54
; %bb.53:
	v_div_scale_f32 v16, null, v4, v4, v34
	s_delay_alu instid0(VALU_DEP_1) | instskip(SKIP_2) | instid1(VALU_DEP_1)
	v_rcp_f32_e32 v18, v16
	s_waitcnt_depctr 0xfff
	v_fma_f32 v19, -v16, v18, 1.0
	v_fmac_f32_e32 v18, v19, v18
	v_div_scale_f32 v19, vcc_lo, v34, v4, v34
	s_delay_alu instid0(VALU_DEP_1) | instskip(NEXT) | instid1(VALU_DEP_1)
	v_mul_f32_e32 v35, v19, v18
	v_fma_f32 v36, -v16, v35, v19
	s_delay_alu instid0(VALU_DEP_1) | instskip(NEXT) | instid1(VALU_DEP_1)
	v_fmac_f32_e32 v35, v36, v18
	v_fma_f32 v16, -v16, v35, v19
	s_delay_alu instid0(VALU_DEP_1) | instskip(NEXT) | instid1(VALU_DEP_1)
	v_div_fmas_f32 v16, v16, v18, v35
	v_div_fixup_f32 v16, v16, v4, v34
	s_delay_alu instid0(VALU_DEP_1)
	v_cvt_f16_f32_e32 v16, v16
.LBB10_54:
	s_or_b32 exec_lo, exec_lo, s1
	v_add_nc_u32_e32 v18, 0x100, v0
	s_delay_alu instid0(VALU_DEP_2) | instskip(SKIP_1) | instid1(VALU_DEP_3)
	v_perm_b32 v17, v16, v17, 0x5040100
	v_perm_b32 v16, v6, v11, 0x5040100
	v_cmp_gt_u32_e32 vcc_lo, s6, v18
	global_store_b64 v[1:2], v[16:17], off offset:256
	s_and_b32 exec_lo, exec_lo, vcc_lo
	s_cbranch_execz .LBB10_109
; %bb.55:
	v_dual_mov_b32 v6, 0 :: v_dual_mov_b32 v11, 0
	s_and_saveexec_b32 s1, s0
	s_cbranch_execz .LBB10_57
; %bb.56:
	v_div_scale_f32 v11, null, v4, v4, v33
	s_delay_alu instid0(VALU_DEP_1) | instskip(SKIP_2) | instid1(VALU_DEP_1)
	v_rcp_f32_e32 v16, v11
	s_waitcnt_depctr 0xfff
	v_fma_f32 v17, -v11, v16, 1.0
	v_fmac_f32_e32 v16, v17, v16
	v_div_scale_f32 v17, vcc_lo, v33, v4, v33
	s_delay_alu instid0(VALU_DEP_1) | instskip(NEXT) | instid1(VALU_DEP_1)
	v_mul_f32_e32 v18, v17, v16
	v_fma_f32 v19, -v11, v18, v17
	s_delay_alu instid0(VALU_DEP_1) | instskip(NEXT) | instid1(VALU_DEP_1)
	v_fmac_f32_e32 v18, v19, v16
	v_fma_f32 v11, -v11, v18, v17
	s_delay_alu instid0(VALU_DEP_1) | instskip(NEXT) | instid1(VALU_DEP_1)
	v_div_fmas_f32 v11, v11, v16, v18
	v_div_fixup_f32 v11, v11, v4, v33
	s_delay_alu instid0(VALU_DEP_1)
	v_cvt_f16_f32_e32 v11, v11
.LBB10_57:
	s_or_b32 exec_lo, exec_lo, s1
	s_and_saveexec_b32 s1, s0
	s_cbranch_execz .LBB10_59
; %bb.58:
	v_div_scale_f32 v6, null, v4, v4, v32
	s_delay_alu instid0(VALU_DEP_1) | instskip(SKIP_2) | instid1(VALU_DEP_1)
	v_rcp_f32_e32 v16, v6
	s_waitcnt_depctr 0xfff
	v_fma_f32 v17, -v6, v16, 1.0
	v_fmac_f32_e32 v16, v17, v16
	v_div_scale_f32 v17, vcc_lo, v32, v4, v32
	s_delay_alu instid0(VALU_DEP_1) | instskip(NEXT) | instid1(VALU_DEP_1)
	v_mul_f32_e32 v18, v17, v16
	v_fma_f32 v19, -v6, v18, v17
	s_delay_alu instid0(VALU_DEP_1) | instskip(NEXT) | instid1(VALU_DEP_1)
	v_fmac_f32_e32 v18, v19, v16
	v_fma_f32 v6, -v6, v18, v17
	s_delay_alu instid0(VALU_DEP_1) | instskip(NEXT) | instid1(VALU_DEP_1)
	v_div_fmas_f32 v6, v6, v16, v18
	v_div_fixup_f32 v6, v6, v4, v32
	s_delay_alu instid0(VALU_DEP_1)
	v_cvt_f16_f32_e32 v6, v6
.LBB10_59:
	s_or_b32 exec_lo, exec_lo, s1
	v_dual_mov_b32 v16, 0 :: v_dual_mov_b32 v17, 0
	s_and_saveexec_b32 s1, s0
	s_cbranch_execz .LBB10_61
; %bb.60:
	v_div_scale_f32 v17, null, v4, v4, v31
	s_delay_alu instid0(VALU_DEP_1) | instskip(SKIP_2) | instid1(VALU_DEP_1)
	v_rcp_f32_e32 v18, v17
	s_waitcnt_depctr 0xfff
	v_fma_f32 v19, -v17, v18, 1.0
	v_fmac_f32_e32 v18, v19, v18
	v_div_scale_f32 v19, vcc_lo, v31, v4, v31
	s_delay_alu instid0(VALU_DEP_1) | instskip(NEXT) | instid1(VALU_DEP_1)
	v_mul_f32_e32 v32, v19, v18
	v_fma_f32 v33, -v17, v32, v19
	s_delay_alu instid0(VALU_DEP_1) | instskip(NEXT) | instid1(VALU_DEP_1)
	v_fmac_f32_e32 v32, v33, v18
	v_fma_f32 v17, -v17, v32, v19
	s_delay_alu instid0(VALU_DEP_1) | instskip(NEXT) | instid1(VALU_DEP_1)
	v_div_fmas_f32 v17, v17, v18, v32
	v_div_fixup_f32 v17, v17, v4, v31
	s_delay_alu instid0(VALU_DEP_1)
	v_cvt_f16_f32_e32 v17, v17
.LBB10_61:
	s_or_b32 exec_lo, exec_lo, s1
	s_and_saveexec_b32 s1, s0
	s_cbranch_execz .LBB10_63
; %bb.62:
	v_div_scale_f32 v16, null, v4, v4, v30
	s_delay_alu instid0(VALU_DEP_1) | instskip(SKIP_2) | instid1(VALU_DEP_1)
	v_rcp_f32_e32 v18, v16
	s_waitcnt_depctr 0xfff
	v_fma_f32 v19, -v16, v18, 1.0
	v_fmac_f32_e32 v18, v19, v18
	v_div_scale_f32 v19, vcc_lo, v30, v4, v30
	s_delay_alu instid0(VALU_DEP_1) | instskip(NEXT) | instid1(VALU_DEP_1)
	v_mul_f32_e32 v31, v19, v18
	v_fma_f32 v32, -v16, v31, v19
	s_delay_alu instid0(VALU_DEP_1) | instskip(NEXT) | instid1(VALU_DEP_1)
	v_fmac_f32_e32 v31, v32, v18
	v_fma_f32 v16, -v16, v31, v19
	s_delay_alu instid0(VALU_DEP_1) | instskip(NEXT) | instid1(VALU_DEP_1)
	v_div_fmas_f32 v16, v16, v18, v31
	v_div_fixup_f32 v16, v16, v4, v30
	s_delay_alu instid0(VALU_DEP_1)
	v_cvt_f16_f32_e32 v16, v16
.LBB10_63:
	s_or_b32 exec_lo, exec_lo, s1
	v_add_nc_u32_e32 v18, 0x180, v0
	s_delay_alu instid0(VALU_DEP_2) | instskip(SKIP_1) | instid1(VALU_DEP_3)
	v_perm_b32 v17, v16, v17, 0x5040100
	v_perm_b32 v16, v6, v11, 0x5040100
	v_cmp_gt_u32_e32 vcc_lo, s6, v18
	global_store_b64 v[1:2], v[16:17], off offset:512
	s_and_b32 exec_lo, exec_lo, vcc_lo
	s_cbranch_execz .LBB10_109
; %bb.64:
	v_dual_mov_b32 v6, 0 :: v_dual_mov_b32 v11, 0
	s_and_saveexec_b32 s1, s0
	s_cbranch_execz .LBB10_66
; %bb.65:
	v_div_scale_f32 v11, null, v4, v4, v29
	s_delay_alu instid0(VALU_DEP_1) | instskip(SKIP_2) | instid1(VALU_DEP_1)
	v_rcp_f32_e32 v16, v11
	s_waitcnt_depctr 0xfff
	v_fma_f32 v17, -v11, v16, 1.0
	v_fmac_f32_e32 v16, v17, v16
	v_div_scale_f32 v17, vcc_lo, v29, v4, v29
	s_delay_alu instid0(VALU_DEP_1) | instskip(NEXT) | instid1(VALU_DEP_1)
	v_mul_f32_e32 v18, v17, v16
	v_fma_f32 v19, -v11, v18, v17
	s_delay_alu instid0(VALU_DEP_1) | instskip(NEXT) | instid1(VALU_DEP_1)
	v_fmac_f32_e32 v18, v19, v16
	v_fma_f32 v11, -v11, v18, v17
	s_delay_alu instid0(VALU_DEP_1) | instskip(NEXT) | instid1(VALU_DEP_1)
	v_div_fmas_f32 v11, v11, v16, v18
	v_div_fixup_f32 v11, v11, v4, v29
	s_delay_alu instid0(VALU_DEP_1)
	v_cvt_f16_f32_e32 v11, v11
.LBB10_66:
	s_or_b32 exec_lo, exec_lo, s1
	s_and_saveexec_b32 s1, s0
	s_cbranch_execz .LBB10_68
; %bb.67:
	v_div_scale_f32 v6, null, v4, v4, v28
	s_delay_alu instid0(VALU_DEP_1) | instskip(SKIP_2) | instid1(VALU_DEP_1)
	v_rcp_f32_e32 v16, v6
	s_waitcnt_depctr 0xfff
	v_fma_f32 v17, -v6, v16, 1.0
	v_fmac_f32_e32 v16, v17, v16
	v_div_scale_f32 v17, vcc_lo, v28, v4, v28
	s_delay_alu instid0(VALU_DEP_1) | instskip(NEXT) | instid1(VALU_DEP_1)
	v_mul_f32_e32 v18, v17, v16
	v_fma_f32 v19, -v6, v18, v17
	s_delay_alu instid0(VALU_DEP_1) | instskip(NEXT) | instid1(VALU_DEP_1)
	v_fmac_f32_e32 v18, v19, v16
	v_fma_f32 v6, -v6, v18, v17
	s_delay_alu instid0(VALU_DEP_1) | instskip(NEXT) | instid1(VALU_DEP_1)
	v_div_fmas_f32 v6, v6, v16, v18
	v_div_fixup_f32 v6, v6, v4, v28
	s_delay_alu instid0(VALU_DEP_1)
	v_cvt_f16_f32_e32 v6, v6
.LBB10_68:
	s_or_b32 exec_lo, exec_lo, s1
	v_dual_mov_b32 v16, 0 :: v_dual_mov_b32 v17, 0
	s_and_saveexec_b32 s1, s0
	s_cbranch_execz .LBB10_70
; %bb.69:
	v_div_scale_f32 v17, null, v4, v4, v27
	s_delay_alu instid0(VALU_DEP_1) | instskip(SKIP_2) | instid1(VALU_DEP_1)
	v_rcp_f32_e32 v18, v17
	s_waitcnt_depctr 0xfff
	v_fma_f32 v19, -v17, v18, 1.0
	v_fmac_f32_e32 v18, v19, v18
	v_div_scale_f32 v19, vcc_lo, v27, v4, v27
	s_delay_alu instid0(VALU_DEP_1) | instskip(NEXT) | instid1(VALU_DEP_1)
	v_mul_f32_e32 v28, v19, v18
	v_fma_f32 v29, -v17, v28, v19
	s_delay_alu instid0(VALU_DEP_1) | instskip(NEXT) | instid1(VALU_DEP_1)
	v_fmac_f32_e32 v28, v29, v18
	v_fma_f32 v17, -v17, v28, v19
	s_delay_alu instid0(VALU_DEP_1) | instskip(NEXT) | instid1(VALU_DEP_1)
	v_div_fmas_f32 v17, v17, v18, v28
	v_div_fixup_f32 v17, v17, v4, v27
	s_delay_alu instid0(VALU_DEP_1)
	v_cvt_f16_f32_e32 v17, v17
.LBB10_70:
	s_or_b32 exec_lo, exec_lo, s1
	s_and_saveexec_b32 s1, s0
	s_cbranch_execz .LBB10_72
; %bb.71:
	v_div_scale_f32 v16, null, v4, v4, v26
	s_delay_alu instid0(VALU_DEP_1) | instskip(SKIP_2) | instid1(VALU_DEP_1)
	v_rcp_f32_e32 v18, v16
	s_waitcnt_depctr 0xfff
	v_fma_f32 v19, -v16, v18, 1.0
	v_fmac_f32_e32 v18, v19, v18
	v_div_scale_f32 v19, vcc_lo, v26, v4, v26
	s_delay_alu instid0(VALU_DEP_1) | instskip(NEXT) | instid1(VALU_DEP_1)
	v_mul_f32_e32 v27, v19, v18
	v_fma_f32 v28, -v16, v27, v19
	s_delay_alu instid0(VALU_DEP_1) | instskip(NEXT) | instid1(VALU_DEP_1)
	v_fmac_f32_e32 v27, v28, v18
	v_fma_f32 v16, -v16, v27, v19
	s_delay_alu instid0(VALU_DEP_1) | instskip(NEXT) | instid1(VALU_DEP_1)
	v_div_fmas_f32 v16, v16, v18, v27
	v_div_fixup_f32 v16, v16, v4, v26
	s_delay_alu instid0(VALU_DEP_1)
	v_cvt_f16_f32_e32 v16, v16
.LBB10_72:
	s_or_b32 exec_lo, exec_lo, s1
	v_add_nc_u32_e32 v18, 0x200, v0
	s_delay_alu instid0(VALU_DEP_2) | instskip(SKIP_1) | instid1(VALU_DEP_3)
	v_perm_b32 v17, v16, v17, 0x5040100
	v_perm_b32 v16, v6, v11, 0x5040100
	v_cmp_gt_u32_e32 vcc_lo, s6, v18
	global_store_b64 v[1:2], v[16:17], off offset:768
	s_and_b32 exec_lo, exec_lo, vcc_lo
	s_cbranch_execz .LBB10_109
; %bb.73:
	v_dual_mov_b32 v6, 0 :: v_dual_mov_b32 v11, 0
	s_and_saveexec_b32 s1, s0
	s_cbranch_execz .LBB10_75
; %bb.74:
	v_div_scale_f32 v11, null, v4, v4, v25
	s_delay_alu instid0(VALU_DEP_1) | instskip(SKIP_2) | instid1(VALU_DEP_1)
	v_rcp_f32_e32 v16, v11
	s_waitcnt_depctr 0xfff
	v_fma_f32 v17, -v11, v16, 1.0
	v_fmac_f32_e32 v16, v17, v16
	v_div_scale_f32 v17, vcc_lo, v25, v4, v25
	s_delay_alu instid0(VALU_DEP_1) | instskip(NEXT) | instid1(VALU_DEP_1)
	v_mul_f32_e32 v18, v17, v16
	v_fma_f32 v19, -v11, v18, v17
	s_delay_alu instid0(VALU_DEP_1) | instskip(NEXT) | instid1(VALU_DEP_1)
	v_fmac_f32_e32 v18, v19, v16
	v_fma_f32 v11, -v11, v18, v17
	s_delay_alu instid0(VALU_DEP_1) | instskip(NEXT) | instid1(VALU_DEP_1)
	v_div_fmas_f32 v11, v11, v16, v18
	v_div_fixup_f32 v11, v11, v4, v25
	s_delay_alu instid0(VALU_DEP_1)
	v_cvt_f16_f32_e32 v11, v11
.LBB10_75:
	s_or_b32 exec_lo, exec_lo, s1
	s_and_saveexec_b32 s1, s0
	s_cbranch_execz .LBB10_77
; %bb.76:
	v_div_scale_f32 v6, null, v4, v4, v24
	s_delay_alu instid0(VALU_DEP_1) | instskip(SKIP_2) | instid1(VALU_DEP_1)
	v_rcp_f32_e32 v16, v6
	s_waitcnt_depctr 0xfff
	v_fma_f32 v17, -v6, v16, 1.0
	v_fmac_f32_e32 v16, v17, v16
	v_div_scale_f32 v17, vcc_lo, v24, v4, v24
	s_delay_alu instid0(VALU_DEP_1) | instskip(NEXT) | instid1(VALU_DEP_1)
	v_mul_f32_e32 v18, v17, v16
	v_fma_f32 v19, -v6, v18, v17
	s_delay_alu instid0(VALU_DEP_1) | instskip(NEXT) | instid1(VALU_DEP_1)
	v_fmac_f32_e32 v18, v19, v16
	v_fma_f32 v6, -v6, v18, v17
	s_delay_alu instid0(VALU_DEP_1) | instskip(NEXT) | instid1(VALU_DEP_1)
	v_div_fmas_f32 v6, v6, v16, v18
	v_div_fixup_f32 v6, v6, v4, v24
	s_delay_alu instid0(VALU_DEP_1)
	v_cvt_f16_f32_e32 v6, v6
.LBB10_77:
	s_or_b32 exec_lo, exec_lo, s1
	v_dual_mov_b32 v16, 0 :: v_dual_mov_b32 v17, 0
	s_and_saveexec_b32 s1, s0
	s_cbranch_execz .LBB10_79
; %bb.78:
	v_div_scale_f32 v17, null, v4, v4, v23
	s_delay_alu instid0(VALU_DEP_1) | instskip(SKIP_2) | instid1(VALU_DEP_1)
	v_rcp_f32_e32 v18, v17
	s_waitcnt_depctr 0xfff
	v_fma_f32 v19, -v17, v18, 1.0
	v_fmac_f32_e32 v18, v19, v18
	v_div_scale_f32 v19, vcc_lo, v23, v4, v23
	s_delay_alu instid0(VALU_DEP_1) | instskip(NEXT) | instid1(VALU_DEP_1)
	v_mul_f32_e32 v24, v19, v18
	v_fma_f32 v25, -v17, v24, v19
	s_delay_alu instid0(VALU_DEP_1) | instskip(NEXT) | instid1(VALU_DEP_1)
	v_fmac_f32_e32 v24, v25, v18
	v_fma_f32 v17, -v17, v24, v19
	s_delay_alu instid0(VALU_DEP_1) | instskip(NEXT) | instid1(VALU_DEP_1)
	v_div_fmas_f32 v17, v17, v18, v24
	v_div_fixup_f32 v17, v17, v4, v23
	s_delay_alu instid0(VALU_DEP_1)
	v_cvt_f16_f32_e32 v17, v17
.LBB10_79:
	s_or_b32 exec_lo, exec_lo, s1
	s_and_saveexec_b32 s1, s0
	s_cbranch_execz .LBB10_81
; %bb.80:
	v_div_scale_f32 v16, null, v4, v4, v22
	s_delay_alu instid0(VALU_DEP_1) | instskip(SKIP_2) | instid1(VALU_DEP_1)
	v_rcp_f32_e32 v18, v16
	s_waitcnt_depctr 0xfff
	v_fma_f32 v19, -v16, v18, 1.0
	v_fmac_f32_e32 v18, v19, v18
	v_div_scale_f32 v19, vcc_lo, v22, v4, v22
	s_delay_alu instid0(VALU_DEP_1) | instskip(NEXT) | instid1(VALU_DEP_1)
	v_mul_f32_e32 v23, v19, v18
	v_fma_f32 v24, -v16, v23, v19
	s_delay_alu instid0(VALU_DEP_1) | instskip(NEXT) | instid1(VALU_DEP_1)
	v_fmac_f32_e32 v23, v24, v18
	v_fma_f32 v16, -v16, v23, v19
	s_delay_alu instid0(VALU_DEP_1) | instskip(NEXT) | instid1(VALU_DEP_1)
	v_div_fmas_f32 v16, v16, v18, v23
	v_div_fixup_f32 v16, v16, v4, v22
	s_delay_alu instid0(VALU_DEP_1)
	v_cvt_f16_f32_e32 v16, v16
.LBB10_81:
	s_or_b32 exec_lo, exec_lo, s1
	v_add_nc_u32_e32 v18, 0x280, v0
	s_delay_alu instid0(VALU_DEP_2) | instskip(SKIP_1) | instid1(VALU_DEP_3)
	v_perm_b32 v17, v16, v17, 0x5040100
	v_perm_b32 v16, v6, v11, 0x5040100
	v_cmp_gt_u32_e32 vcc_lo, s6, v18
	global_store_b64 v[1:2], v[16:17], off offset:1024
	s_and_b32 exec_lo, exec_lo, vcc_lo
	s_cbranch_execz .LBB10_109
; %bb.82:
	v_dual_mov_b32 v6, 0 :: v_dual_mov_b32 v11, 0
	s_and_saveexec_b32 s1, s0
	s_cbranch_execz .LBB10_84
; %bb.83:
	v_div_scale_f32 v11, null, v4, v4, v21
	s_delay_alu instid0(VALU_DEP_1) | instskip(SKIP_2) | instid1(VALU_DEP_1)
	v_rcp_f32_e32 v16, v11
	s_waitcnt_depctr 0xfff
	v_fma_f32 v17, -v11, v16, 1.0
	v_fmac_f32_e32 v16, v17, v16
	v_div_scale_f32 v17, vcc_lo, v21, v4, v21
	s_delay_alu instid0(VALU_DEP_1) | instskip(NEXT) | instid1(VALU_DEP_1)
	v_mul_f32_e32 v18, v17, v16
	v_fma_f32 v19, -v11, v18, v17
	s_delay_alu instid0(VALU_DEP_1) | instskip(NEXT) | instid1(VALU_DEP_1)
	v_fmac_f32_e32 v18, v19, v16
	v_fma_f32 v11, -v11, v18, v17
	s_delay_alu instid0(VALU_DEP_1) | instskip(NEXT) | instid1(VALU_DEP_1)
	v_div_fmas_f32 v11, v11, v16, v18
	v_div_fixup_f32 v11, v11, v4, v21
	s_delay_alu instid0(VALU_DEP_1)
	v_cvt_f16_f32_e32 v11, v11
.LBB10_84:
	s_or_b32 exec_lo, exec_lo, s1
	s_and_saveexec_b32 s1, s0
	s_cbranch_execz .LBB10_86
; %bb.85:
	v_div_scale_f32 v6, null, v4, v4, v20
	s_delay_alu instid0(VALU_DEP_1) | instskip(SKIP_2) | instid1(VALU_DEP_1)
	v_rcp_f32_e32 v16, v6
	s_waitcnt_depctr 0xfff
	v_fma_f32 v17, -v6, v16, 1.0
	v_fmac_f32_e32 v16, v17, v16
	v_div_scale_f32 v17, vcc_lo, v20, v4, v20
	s_delay_alu instid0(VALU_DEP_1) | instskip(NEXT) | instid1(VALU_DEP_1)
	v_mul_f32_e32 v18, v17, v16
	v_fma_f32 v19, -v6, v18, v17
	s_delay_alu instid0(VALU_DEP_1) | instskip(NEXT) | instid1(VALU_DEP_1)
	v_fmac_f32_e32 v18, v19, v16
	v_fma_f32 v6, -v6, v18, v17
	s_delay_alu instid0(VALU_DEP_1) | instskip(NEXT) | instid1(VALU_DEP_1)
	v_div_fmas_f32 v6, v6, v16, v18
	v_div_fixup_f32 v6, v6, v4, v20
	s_delay_alu instid0(VALU_DEP_1)
	v_cvt_f16_f32_e32 v6, v6
.LBB10_86:
	s_or_b32 exec_lo, exec_lo, s1
	v_dual_mov_b32 v16, 0 :: v_dual_mov_b32 v17, 0
	s_and_saveexec_b32 s1, s0
	s_cbranch_execz .LBB10_88
; %bb.87:
	v_div_scale_f32 v17, null, v4, v4, v14
	s_delay_alu instid0(VALU_DEP_1) | instskip(SKIP_2) | instid1(VALU_DEP_1)
	v_rcp_f32_e32 v18, v17
	s_waitcnt_depctr 0xfff
	v_fma_f32 v19, -v17, v18, 1.0
	v_fmac_f32_e32 v18, v19, v18
	v_div_scale_f32 v19, vcc_lo, v14, v4, v14
	s_delay_alu instid0(VALU_DEP_1) | instskip(NEXT) | instid1(VALU_DEP_1)
	v_mul_f32_e32 v20, v19, v18
	v_fma_f32 v21, -v17, v20, v19
	s_delay_alu instid0(VALU_DEP_1) | instskip(NEXT) | instid1(VALU_DEP_1)
	v_fmac_f32_e32 v20, v21, v18
	v_fma_f32 v17, -v17, v20, v19
	s_delay_alu instid0(VALU_DEP_1) | instskip(NEXT) | instid1(VALU_DEP_1)
	v_div_fmas_f32 v17, v17, v18, v20
	v_div_fixup_f32 v14, v17, v4, v14
	s_delay_alu instid0(VALU_DEP_1)
	v_cvt_f16_f32_e32 v17, v14
.LBB10_88:
	s_or_b32 exec_lo, exec_lo, s1
	s_and_saveexec_b32 s1, s0
	s_cbranch_execz .LBB10_90
; %bb.89:
	v_div_scale_f32 v14, null, v4, v4, v15
	s_delay_alu instid0(VALU_DEP_1) | instskip(SKIP_2) | instid1(VALU_DEP_1)
	v_rcp_f32_e32 v16, v14
	s_waitcnt_depctr 0xfff
	v_fma_f32 v18, -v14, v16, 1.0
	v_fmac_f32_e32 v16, v18, v16
	v_div_scale_f32 v18, vcc_lo, v15, v4, v15
	s_delay_alu instid0(VALU_DEP_1) | instskip(NEXT) | instid1(VALU_DEP_1)
	v_mul_f32_e32 v19, v18, v16
	v_fma_f32 v20, -v14, v19, v18
	s_delay_alu instid0(VALU_DEP_1) | instskip(NEXT) | instid1(VALU_DEP_1)
	v_fmac_f32_e32 v19, v20, v16
	v_fma_f32 v14, -v14, v19, v18
	s_delay_alu instid0(VALU_DEP_1) | instskip(NEXT) | instid1(VALU_DEP_1)
	v_div_fmas_f32 v14, v14, v16, v19
	v_div_fixup_f32 v14, v14, v4, v15
	s_delay_alu instid0(VALU_DEP_1)
	v_cvt_f16_f32_e32 v16, v14
.LBB10_90:
	s_or_b32 exec_lo, exec_lo, s1
	v_add_nc_u32_e32 v18, 0x300, v0
	s_delay_alu instid0(VALU_DEP_2) | instskip(SKIP_1) | instid1(VALU_DEP_3)
	v_perm_b32 v15, v16, v17, 0x5040100
	v_perm_b32 v14, v6, v11, 0x5040100
	v_cmp_gt_u32_e32 vcc_lo, s6, v18
	global_store_b64 v[1:2], v[14:15], off offset:1280
	s_and_b32 exec_lo, exec_lo, vcc_lo
	s_cbranch_execz .LBB10_109
; %bb.91:
	v_dual_mov_b32 v6, 0 :: v_dual_mov_b32 v11, 0
	s_and_saveexec_b32 s1, s0
	s_cbranch_execz .LBB10_93
; %bb.92:
	v_div_scale_f32 v11, null, v4, v4, v13
	s_delay_alu instid0(VALU_DEP_1) | instskip(SKIP_2) | instid1(VALU_DEP_1)
	v_rcp_f32_e32 v14, v11
	s_waitcnt_depctr 0xfff
	v_fma_f32 v15, -v11, v14, 1.0
	v_fmac_f32_e32 v14, v15, v14
	v_div_scale_f32 v15, vcc_lo, v13, v4, v13
	s_delay_alu instid0(VALU_DEP_1) | instskip(NEXT) | instid1(VALU_DEP_1)
	v_mul_f32_e32 v16, v15, v14
	v_fma_f32 v17, -v11, v16, v15
	s_delay_alu instid0(VALU_DEP_1) | instskip(NEXT) | instid1(VALU_DEP_1)
	v_fmac_f32_e32 v16, v17, v14
	v_fma_f32 v11, -v11, v16, v15
	s_delay_alu instid0(VALU_DEP_1) | instskip(NEXT) | instid1(VALU_DEP_1)
	v_div_fmas_f32 v11, v11, v14, v16
	v_div_fixup_f32 v11, v11, v4, v13
	s_delay_alu instid0(VALU_DEP_1)
	v_cvt_f16_f32_e32 v11, v11
.LBB10_93:
	s_or_b32 exec_lo, exec_lo, s1
	s_and_saveexec_b32 s1, s0
	s_cbranch_execz .LBB10_95
; %bb.94:
	v_div_scale_f32 v6, null, v4, v4, v12
	s_delay_alu instid0(VALU_DEP_1) | instskip(SKIP_2) | instid1(VALU_DEP_1)
	v_rcp_f32_e32 v13, v6
	s_waitcnt_depctr 0xfff
	v_fma_f32 v14, -v6, v13, 1.0
	v_fmac_f32_e32 v13, v14, v13
	v_div_scale_f32 v14, vcc_lo, v12, v4, v12
	s_delay_alu instid0(VALU_DEP_1) | instskip(NEXT) | instid1(VALU_DEP_1)
	v_mul_f32_e32 v15, v14, v13
	v_fma_f32 v16, -v6, v15, v14
	s_delay_alu instid0(VALU_DEP_1) | instskip(NEXT) | instid1(VALU_DEP_1)
	v_fmac_f32_e32 v15, v16, v13
	v_fma_f32 v6, -v6, v15, v14
	s_delay_alu instid0(VALU_DEP_1) | instskip(NEXT) | instid1(VALU_DEP_1)
	v_div_fmas_f32 v6, v6, v13, v15
	v_div_fixup_f32 v6, v6, v4, v12
	s_delay_alu instid0(VALU_DEP_1)
	v_cvt_f16_f32_e32 v6, v6
.LBB10_95:
	s_or_b32 exec_lo, exec_lo, s1
	v_dual_mov_b32 v12, 0 :: v_dual_mov_b32 v13, 0
	s_and_saveexec_b32 s1, s0
	s_cbranch_execz .LBB10_97
; %bb.96:
	v_div_scale_f32 v13, null, v4, v4, v10
	s_delay_alu instid0(VALU_DEP_1) | instskip(SKIP_2) | instid1(VALU_DEP_1)
	v_rcp_f32_e32 v14, v13
	s_waitcnt_depctr 0xfff
	v_fma_f32 v15, -v13, v14, 1.0
	v_fmac_f32_e32 v14, v15, v14
	v_div_scale_f32 v15, vcc_lo, v10, v4, v10
	s_delay_alu instid0(VALU_DEP_1) | instskip(NEXT) | instid1(VALU_DEP_1)
	v_mul_f32_e32 v16, v15, v14
	v_fma_f32 v17, -v13, v16, v15
	s_delay_alu instid0(VALU_DEP_1) | instskip(NEXT) | instid1(VALU_DEP_1)
	v_fmac_f32_e32 v16, v17, v14
	v_fma_f32 v13, -v13, v16, v15
	s_delay_alu instid0(VALU_DEP_1) | instskip(NEXT) | instid1(VALU_DEP_1)
	v_div_fmas_f32 v13, v13, v14, v16
	v_div_fixup_f32 v10, v13, v4, v10
	s_delay_alu instid0(VALU_DEP_1)
	v_cvt_f16_f32_e32 v13, v10
.LBB10_97:
	s_or_b32 exec_lo, exec_lo, s1
	s_and_saveexec_b32 s1, s0
	s_cbranch_execz .LBB10_99
; %bb.98:
	v_div_scale_f32 v10, null, v4, v4, v9
	s_delay_alu instid0(VALU_DEP_1) | instskip(SKIP_2) | instid1(VALU_DEP_1)
	v_rcp_f32_e32 v12, v10
	s_waitcnt_depctr 0xfff
	v_fma_f32 v14, -v10, v12, 1.0
	v_fmac_f32_e32 v12, v14, v12
	v_div_scale_f32 v14, vcc_lo, v9, v4, v9
	s_delay_alu instid0(VALU_DEP_1) | instskip(NEXT) | instid1(VALU_DEP_1)
	v_mul_f32_e32 v15, v14, v12
	v_fma_f32 v16, -v10, v15, v14
	s_delay_alu instid0(VALU_DEP_1) | instskip(NEXT) | instid1(VALU_DEP_1)
	v_fmac_f32_e32 v15, v16, v12
	v_fma_f32 v10, -v10, v15, v14
	s_delay_alu instid0(VALU_DEP_1) | instskip(NEXT) | instid1(VALU_DEP_1)
	v_div_fmas_f32 v10, v10, v12, v15
	v_div_fixup_f32 v9, v10, v4, v9
	s_delay_alu instid0(VALU_DEP_1)
	v_cvt_f16_f32_e32 v12, v9
.LBB10_99:
	s_or_b32 exec_lo, exec_lo, s1
	v_add_nc_u32_e32 v0, 0x380, v0
	s_delay_alu instid0(VALU_DEP_2) | instskip(SKIP_1) | instid1(VALU_DEP_3)
	v_perm_b32 v10, v12, v13, 0x5040100
	v_perm_b32 v9, v6, v11, 0x5040100
	v_cmp_gt_u32_e32 vcc_lo, s6, v0
	global_store_b64 v[1:2], v[9:10], off offset:1536
	s_and_b32 exec_lo, exec_lo, vcc_lo
	s_cbranch_execz .LBB10_109
; %bb.100:
	v_mov_b32_e32 v0, 0
	v_mov_b32_e32 v6, 0
	s_and_saveexec_b32 s1, s0
	s_cbranch_execz .LBB10_102
; %bb.101:
	v_div_scale_f32 v6, null, v4, v4, v8
	s_delay_alu instid0(VALU_DEP_1) | instskip(SKIP_2) | instid1(VALU_DEP_1)
	v_rcp_f32_e32 v9, v6
	s_waitcnt_depctr 0xfff
	v_fma_f32 v10, -v6, v9, 1.0
	v_fmac_f32_e32 v9, v10, v9
	v_div_scale_f32 v10, vcc_lo, v8, v4, v8
	s_delay_alu instid0(VALU_DEP_1) | instskip(NEXT) | instid1(VALU_DEP_1)
	v_mul_f32_e32 v11, v10, v9
	v_fma_f32 v12, -v6, v11, v10
	s_delay_alu instid0(VALU_DEP_1) | instskip(NEXT) | instid1(VALU_DEP_1)
	v_fmac_f32_e32 v11, v12, v9
	v_fma_f32 v6, -v6, v11, v10
	s_delay_alu instid0(VALU_DEP_1) | instskip(NEXT) | instid1(VALU_DEP_1)
	v_div_fmas_f32 v6, v6, v9, v11
	v_div_fixup_f32 v6, v6, v4, v8
	s_delay_alu instid0(VALU_DEP_1)
	v_cvt_f16_f32_e32 v6, v6
.LBB10_102:
	s_or_b32 exec_lo, exec_lo, s1
	s_and_saveexec_b32 s1, s0
	s_cbranch_execz .LBB10_104
; %bb.103:
	v_div_scale_f32 v0, null, v4, v4, v7
	s_delay_alu instid0(VALU_DEP_1) | instskip(SKIP_2) | instid1(VALU_DEP_1)
	v_rcp_f32_e32 v8, v0
	s_waitcnt_depctr 0xfff
	v_fma_f32 v9, -v0, v8, 1.0
	v_fmac_f32_e32 v8, v9, v8
	v_div_scale_f32 v9, vcc_lo, v7, v4, v7
	s_delay_alu instid0(VALU_DEP_1) | instskip(NEXT) | instid1(VALU_DEP_1)
	v_mul_f32_e32 v10, v9, v8
	v_fma_f32 v11, -v0, v10, v9
	s_delay_alu instid0(VALU_DEP_1) | instskip(NEXT) | instid1(VALU_DEP_1)
	v_fmac_f32_e32 v10, v11, v8
	v_fma_f32 v0, -v0, v10, v9
	s_delay_alu instid0(VALU_DEP_1) | instskip(NEXT) | instid1(VALU_DEP_1)
	v_div_fmas_f32 v0, v0, v8, v10
	v_div_fixup_f32 v0, v0, v4, v7
	s_delay_alu instid0(VALU_DEP_1)
	v_cvt_f16_f32_e32 v0, v0
.LBB10_104:
	s_or_b32 exec_lo, exec_lo, s1
	v_dual_mov_b32 v7, 0 :: v_dual_mov_b32 v8, 0
	s_and_saveexec_b32 s1, s0
	s_cbranch_execz .LBB10_106
; %bb.105:
	v_div_scale_f32 v8, null, v4, v4, v5
	s_delay_alu instid0(VALU_DEP_1) | instskip(SKIP_2) | instid1(VALU_DEP_1)
	v_rcp_f32_e32 v9, v8
	s_waitcnt_depctr 0xfff
	v_fma_f32 v10, -v8, v9, 1.0
	v_fmac_f32_e32 v9, v10, v9
	v_div_scale_f32 v10, vcc_lo, v5, v4, v5
	s_delay_alu instid0(VALU_DEP_1) | instskip(NEXT) | instid1(VALU_DEP_1)
	v_mul_f32_e32 v11, v10, v9
	v_fma_f32 v12, -v8, v11, v10
	s_delay_alu instid0(VALU_DEP_1) | instskip(NEXT) | instid1(VALU_DEP_1)
	v_fmac_f32_e32 v11, v12, v9
	v_fma_f32 v8, -v8, v11, v10
	s_delay_alu instid0(VALU_DEP_1) | instskip(NEXT) | instid1(VALU_DEP_1)
	v_div_fmas_f32 v8, v8, v9, v11
	v_div_fixup_f32 v5, v8, v4, v5
	s_delay_alu instid0(VALU_DEP_1)
	v_cvt_f16_f32_e32 v8, v5
.LBB10_106:
	s_or_b32 exec_lo, exec_lo, s1
	s_and_saveexec_b32 s1, s0
	s_cbranch_execz .LBB10_108
; %bb.107:
	v_div_scale_f32 v5, null, v4, v4, v3
	s_delay_alu instid0(VALU_DEP_1) | instskip(SKIP_2) | instid1(VALU_DEP_1)
	v_rcp_f32_e32 v7, v5
	s_waitcnt_depctr 0xfff
	v_fma_f32 v9, -v5, v7, 1.0
	v_fmac_f32_e32 v7, v9, v7
	v_div_scale_f32 v9, vcc_lo, v3, v4, v3
	s_delay_alu instid0(VALU_DEP_1) | instskip(NEXT) | instid1(VALU_DEP_1)
	v_mul_f32_e32 v10, v9, v7
	v_fma_f32 v11, -v5, v10, v9
	s_delay_alu instid0(VALU_DEP_1) | instskip(NEXT) | instid1(VALU_DEP_1)
	v_fmac_f32_e32 v10, v11, v7
	v_fma_f32 v5, -v5, v10, v9
	s_delay_alu instid0(VALU_DEP_1) | instskip(NEXT) | instid1(VALU_DEP_1)
	v_div_fmas_f32 v5, v5, v7, v10
	v_div_fixup_f32 v3, v5, v4, v3
	s_delay_alu instid0(VALU_DEP_1)
	v_cvt_f16_f32_e32 v7, v3
.LBB10_108:
	s_or_b32 exec_lo, exec_lo, s1
	s_delay_alu instid0(VALU_DEP_1)
	v_perm_b32 v4, v7, v8, 0x5040100
	v_perm_b32 v3, v0, v6, 0x5040100
	global_store_b64 v[1:2], v[3:4], off offset:1792
.LBB10_109:
	s_nop 0
	s_sendmsg sendmsg(MSG_DEALLOC_VGPRS)
	s_endpgm
	.section	.rodata,"a",@progbits
	.p2align	6, 0x0
	.amdhsa_kernel _Z34scaled_masked_softmax_warp_forwardI6__halfS0_fLi10EEvPT0_PKT_PKhT1_iii
		.amdhsa_group_segment_fixed_size 0
		.amdhsa_private_segment_fixed_size 0
		.amdhsa_kernarg_size 296
		.amdhsa_user_sgpr_count 13
		.amdhsa_user_sgpr_dispatch_ptr 0
		.amdhsa_user_sgpr_queue_ptr 0
		.amdhsa_user_sgpr_kernarg_segment_ptr 1
		.amdhsa_user_sgpr_dispatch_id 0
		.amdhsa_user_sgpr_private_segment_size 0
		.amdhsa_wavefront_size32 1
		.amdhsa_uses_dynamic_stack 0
		.amdhsa_enable_private_segment 0
		.amdhsa_system_sgpr_workgroup_id_x 1
		.amdhsa_system_sgpr_workgroup_id_y 1
		.amdhsa_system_sgpr_workgroup_id_z 1
		.amdhsa_system_sgpr_workgroup_info 0
		.amdhsa_system_vgpr_workitem_id 1
		.amdhsa_next_free_vgpr 93
		.amdhsa_next_free_sgpr 16
		.amdhsa_reserve_vcc 1
		.amdhsa_float_round_mode_32 0
		.amdhsa_float_round_mode_16_64 0
		.amdhsa_float_denorm_mode_32 3
		.amdhsa_float_denorm_mode_16_64 3
		.amdhsa_dx10_clamp 1
		.amdhsa_ieee_mode 1
		.amdhsa_fp16_overflow 0
		.amdhsa_workgroup_processor_mode 1
		.amdhsa_memory_ordered 1
		.amdhsa_forward_progress 0
		.amdhsa_shared_vgpr_count 0
		.amdhsa_exception_fp_ieee_invalid_op 0
		.amdhsa_exception_fp_denorm_src 0
		.amdhsa_exception_fp_ieee_div_zero 0
		.amdhsa_exception_fp_ieee_overflow 0
		.amdhsa_exception_fp_ieee_underflow 0
		.amdhsa_exception_fp_ieee_inexact 0
		.amdhsa_exception_int_div_zero 0
	.end_amdhsa_kernel
	.section	.text._Z34scaled_masked_softmax_warp_forwardI6__halfS0_fLi10EEvPT0_PKT_PKhT1_iii,"axG",@progbits,_Z34scaled_masked_softmax_warp_forwardI6__halfS0_fLi10EEvPT0_PKT_PKhT1_iii,comdat
.Lfunc_end10:
	.size	_Z34scaled_masked_softmax_warp_forwardI6__halfS0_fLi10EEvPT0_PKT_PKhT1_iii, .Lfunc_end10-_Z34scaled_masked_softmax_warp_forwardI6__halfS0_fLi10EEvPT0_PKT_PKhT1_iii
                                        ; -- End function
	.section	.AMDGPU.csdata,"",@progbits
; Kernel info:
; codeLenInByte = 11304
; NumSgprs: 18
; NumVgprs: 93
; ScratchSize: 0
; MemoryBound: 0
; FloatMode: 240
; IeeeMode: 1
; LDSByteSize: 0 bytes/workgroup (compile time only)
; SGPRBlocks: 2
; VGPRBlocks: 11
; NumSGPRsForWavesPerEU: 18
; NumVGPRsForWavesPerEU: 93
; Occupancy: 16
; WaveLimiterHint : 0
; COMPUTE_PGM_RSRC2:SCRATCH_EN: 0
; COMPUTE_PGM_RSRC2:USER_SGPR: 13
; COMPUTE_PGM_RSRC2:TRAP_HANDLER: 0
; COMPUTE_PGM_RSRC2:TGID_X_EN: 1
; COMPUTE_PGM_RSRC2:TGID_Y_EN: 1
; COMPUTE_PGM_RSRC2:TGID_Z_EN: 1
; COMPUTE_PGM_RSRC2:TIDIG_COMP_CNT: 1
	.section	.text._Z34scaled_masked_softmax_warp_forwardI14__hip_bfloat16S0_fLi0EEvPT0_PKT_PKhT1_iii,"axG",@progbits,_Z34scaled_masked_softmax_warp_forwardI14__hip_bfloat16S0_fLi0EEvPT0_PKT_PKhT1_iii,comdat
	.protected	_Z34scaled_masked_softmax_warp_forwardI14__hip_bfloat16S0_fLi0EEvPT0_PKT_PKhT1_iii ; -- Begin function _Z34scaled_masked_softmax_warp_forwardI14__hip_bfloat16S0_fLi0EEvPT0_PKT_PKhT1_iii
	.globl	_Z34scaled_masked_softmax_warp_forwardI14__hip_bfloat16S0_fLi0EEvPT0_PKT_PKhT1_iii
	.p2align	8
	.type	_Z34scaled_masked_softmax_warp_forwardI14__hip_bfloat16S0_fLi0EEvPT0_PKT_PKhT1_iii,@function
_Z34scaled_masked_softmax_warp_forwardI14__hip_bfloat16S0_fLi0EEvPT0_PKT_PKhT1_iii: ; @_Z34scaled_masked_softmax_warp_forwardI14__hip_bfloat16S0_fLi0EEvPT0_PKT_PKhT1_iii
; %bb.0:
	s_clause 0x2
	s_load_b32 s10, s[2:3], 0x34
	s_load_b128 s[4:7], s[2:3], 0x18
	s_load_b64 s[8:9], s[2:3], 0x28
	s_waitcnt lgkmcnt(0)
	s_lshr_b32 s10, s10, 16
	s_cmp_eq_u32 s7, 1
	s_mov_b32 s7, s13
	s_cbranch_scc1 .LBB11_2
; %bb.1:
	s_mul_i32 s7, s8, s15
	s_delay_alu instid0(SALU_CYCLE_1)
	s_add_i32 s7, s7, s13
.LBB11_2:
	s_load_b64 s[16:17], s[0:1], 0x4
	s_mul_i32 s0, s9, s15
	v_bfe_u32 v1, v0, 10, 10
	s_add_i32 s0, s0, s14
	v_and_b32_e32 v7, 0x3ff, v0
	s_mul_i32 s1, s8, s0
	s_and_b32 s0, 0xffff, s10
	s_add_i32 s1, s1, s13
	s_clause 0x1
	s_load_b128 s[8:11], s[2:3], 0x0
	s_load_b64 s[2:3], s[2:3], 0x10
	v_mad_u64_u32 v[2:3], null, s1, s0, v[1:2]
	v_bfe_u32 v0, v0, 20, 10
	s_mov_b32 s12, 0
	s_delay_alu instid0(VALU_DEP_2) | instskip(SKIP_3) | instid1(VALU_DEP_2)
	v_lshlrev_b32_e32 v3, 1, v2
	v_mul_lo_u32 v2, s6, v2
	s_waitcnt lgkmcnt(0)
	s_lshr_b32 s1, s16, 16
	v_sub_nc_u32_e32 v3, s5, v3
	s_mul_i32 s1, s1, s17
	s_delay_alu instid0(SALU_CYCLE_1) | instskip(NEXT) | instid1(VALU_DEP_2)
	v_mul_lo_u32 v4, s1, v7
	v_min_i32_e32 v5, 2, v3
	v_cmp_lt_i32_e32 vcc_lo, 0, v3
	s_delay_alu instid0(VALU_DEP_2) | instskip(NEXT) | instid1(VALU_DEP_4)
	v_max_i32_e32 v5, 1, v5
	v_mad_u32_u24 v4, v1, s17, v4
	s_delay_alu instid0(VALU_DEP_1)
	v_add_lshl_u32 v6, v4, v0, 3
	v_lshl_add_u32 v0, v2, 1, v7
                                        ; implicit-def: $vgpr2
	s_and_saveexec_b32 s5, vcc_lo
	s_cbranch_execz .LBB11_10
; %bb.3:
	v_mad_u64_u32 v[2:3], null, s7, s0, v[1:2]
	s_delay_alu instid0(VALU_DEP_2) | instskip(SKIP_3) | instid1(VALU_DEP_4)
	v_ashrrev_i32_e32 v1, 31, v0
	v_cmp_gt_i32_e64 s0, s6, v7
	v_dual_mov_b32 v8, v5 :: v_dual_mov_b32 v9, v6
	s_ashr_i32 s7, s6, 31
	v_mul_lo_u32 v2, s6, v2
	s_delay_alu instid0(VALU_DEP_1) | instskip(SKIP_1) | instid1(VALU_DEP_2)
	v_lshl_add_u32 v3, v2, 1, v7
	v_lshlrev_b64 v[1:2], 1, v[0:1]
	v_ashrrev_i32_e32 v4, 31, v3
	s_delay_alu instid0(VALU_DEP_2) | instskip(NEXT) | instid1(VALU_DEP_1)
	v_add_co_u32 v1, s1, s10, v1
	v_add_co_ci_u32_e64 v2, s1, s11, v2, s1
	v_add_co_u32 v3, s1, s2, v3
	s_delay_alu instid0(VALU_DEP_1)
	v_add_co_ci_u32_e64 v4, s1, s3, v4, s1
	s_lshl_b64 s[10:11], s[6:7], 1
	s_set_inst_prefetch_distance 0x1
	s_branch .LBB11_6
	.p2align	6
.LBB11_4:                               ;   in Loop: Header=BB11_6 Depth=1
	s_or_b32 exec_lo, exec_lo, s3
.LBB11_5:                               ;   in Loop: Header=BB11_6 Depth=1
	s_delay_alu instid0(SALU_CYCLE_1) | instskip(SKIP_2) | instid1(VALU_DEP_1)
	s_or_b32 exec_lo, exec_lo, s2
	v_add_nc_u32_e32 v8, -1, v8
	v_add_co_u32 v1, s1, v1, s10
	v_add_co_ci_u32_e64 v2, s1, s11, v2, s1
	s_delay_alu instid0(VALU_DEP_3)
	v_cmp_eq_u32_e64 s1, 0, v8
	v_add_co_u32 v3, s2, v3, s6
	ds_store_b32 v9, v10
	v_add_nc_u32_e32 v9, 4, v9
	v_add_co_ci_u32_e64 v4, s2, s7, v4, s2
	s_or_b32 s12, s1, s12
	s_delay_alu instid0(SALU_CYCLE_1)
	s_and_not1_b32 exec_lo, exec_lo, s12
	s_cbranch_execz .LBB11_9
.LBB11_6:                               ; =>This Inner Loop Header: Depth=1
	v_mov_b32_e32 v10, 0xff800000
	s_and_saveexec_b32 s2, s0
	s_cbranch_execz .LBB11_5
; %bb.7:                                ;   in Loop: Header=BB11_6 Depth=1
	global_load_u8 v10, v[3:4], off
	s_waitcnt vmcnt(0)
	v_cmp_ne_u16_e64 s1, 1, v10
	v_mov_b32_e32 v10, 0xc61c4000
	s_delay_alu instid0(VALU_DEP_2)
	s_and_saveexec_b32 s3, s1
	s_cbranch_execz .LBB11_4
; %bb.8:                                ;   in Loop: Header=BB11_6 Depth=1
	global_load_u16 v10, v[1:2], off
	s_waitcnt vmcnt(0)
	v_lshlrev_b32_e32 v10, 16, v10
	s_delay_alu instid0(VALU_DEP_1)
	v_mul_f32_e32 v10, s4, v10
	s_branch .LBB11_4
.LBB11_9:
	s_set_inst_prefetch_distance 0x2
	s_or_b32 exec_lo, exec_lo, s12
	ds_load_2addr_b32 v[2:3], v6 offset1:1
.LBB11_10:
	s_or_b32 exec_lo, exec_lo, s5
	s_waitcnt lgkmcnt(0)
	v_dual_sub_f32 v1, v2, v2 :: v_dual_sub_f32 v8, v3, v3
	s_mov_b32 s10, 0
	s_delay_alu instid0(VALU_DEP_1) | instskip(SKIP_1) | instid1(VALU_DEP_2)
	v_dual_mul_f32 v4, 0x3fb8aa3b, v1 :: v_dual_mul_f32 v9, 0x3fb8aa3b, v8
	v_cmp_ngt_f32_e64 s0, 0xc2ce8ed0, v1
	v_rndne_f32_e32 v10, v4
	v_fma_f32 v11, 0x3fb8aa3b, v1, -v4
	s_delay_alu instid0(VALU_DEP_4) | instskip(SKIP_1) | instid1(VALU_DEP_3)
	v_rndne_f32_e32 v12, v9
	v_fma_f32 v13, 0x3fb8aa3b, v8, -v9
	v_dual_sub_f32 v4, v4, v10 :: v_dual_fmac_f32 v11, 0x32a5705f, v1
	s_delay_alu instid0(VALU_DEP_3) | instskip(NEXT) | instid1(VALU_DEP_3)
	v_sub_f32_e32 v9, v9, v12
	v_fmac_f32_e32 v13, 0x32a5705f, v8
	v_cvt_i32_f32_e32 v10, v10
	s_delay_alu instid0(VALU_DEP_4) | instskip(SKIP_1) | instid1(VALU_DEP_4)
	v_add_f32_e32 v4, v4, v11
	v_cvt_i32_f32_e32 v11, v12
	v_add_f32_e32 v9, v9, v13
	s_delay_alu instid0(VALU_DEP_3) | instskip(NEXT) | instid1(VALU_DEP_1)
	v_exp_f32_e32 v4, v4
	v_exp_f32_e32 v9, v9
	s_waitcnt_depctr 0xfff
	v_ldexp_f32 v4, v4, v10
	v_ldexp_f32 v9, v9, v11
	s_delay_alu instid0(VALU_DEP_2) | instskip(SKIP_1) | instid1(VALU_DEP_1)
	v_cndmask_b32_e64 v4, 0, v4, s0
	v_cmp_ngt_f32_e64 s0, 0xc2ce8ed0, v8
	v_cndmask_b32_e64 v9, 0, v9, s0
	v_cmp_nlt_f32_e64 s0, 0x42b17218, v1
	s_delay_alu instid0(VALU_DEP_1) | instskip(SKIP_1) | instid1(VALU_DEP_1)
	v_cndmask_b32_e64 v4, 0x7f800000, v4, s0
	v_cmp_nlt_f32_e64 s0, 0x42b17218, v8
	v_cndmask_b32_e64 v8, 0x7f800000, v9, s0
	ds_store_2addr_b32 v6, v4, v8 offset1:1
	s_and_saveexec_b32 s0, vcc_lo
	s_cbranch_execz .LBB11_21
; %bb.11:
	v_ashrrev_i32_e32 v1, 31, v0
	v_cmp_eq_f32_e32 vcc_lo, 0xc61c4000, v2
	v_cmp_gt_i32_e64 s0, s6, v7
	s_ashr_i32 s7, s6, 31
	s_mov_b64 s[4:5], 0
	v_lshlrev_b64 v[0:1], 1, v[0:1]
	v_cndmask_b32_e64 v2, 1.0, 0, vcc_lo
	v_cmp_eq_f32_e32 vcc_lo, 0xc61c4000, v3
	s_lshl_b64 s[2:3], s[6:7], 1
	v_cndmask_b32_e64 v3, 1.0, 0, vcc_lo
	s_delay_alu instid0(VALU_DEP_4)
	v_add_co_u32 v0, vcc_lo, s8, v0
	v_add_co_ci_u32_e32 v1, vcc_lo, s9, v1, vcc_lo
	s_branch .LBB11_15
.LBB11_12:                              ;   in Loop: Header=BB11_15 Depth=1
	s_or_b32 exec_lo, exec_lo, s7
	s_delay_alu instid0(VALU_DEP_1)
	v_lshrrev_b32_e32 v7, 16, v9
.LBB11_13:                              ;   in Loop: Header=BB11_15 Depth=1
	s_or_b32 exec_lo, exec_lo, s6
	global_store_b16 v[0:1], v7, off
.LBB11_14:                              ;   in Loop: Header=BB11_15 Depth=1
	s_or_b32 exec_lo, exec_lo, s1
	s_add_u32 s4, s4, 1
	v_add_co_u32 v0, s1, v0, s2
	v_cmp_eq_u32_e32 vcc_lo, s4, v5
	v_add_co_ci_u32_e64 v1, s1, s3, v1, s1
	v_add_nc_u32_e32 v6, 4, v6
	s_addc_u32 s5, s5, 0
	s_or_b32 s10, vcc_lo, s10
	s_delay_alu instid0(SALU_CYCLE_1)
	s_and_not1_b32 exec_lo, exec_lo, s10
	s_cbranch_execz .LBB11_21
.LBB11_15:                              ; =>This Inner Loop Header: Depth=1
	s_and_saveexec_b32 s1, s0
	s_cbranch_execz .LBB11_14
; %bb.16:                               ;   in Loop: Header=BB11_15 Depth=1
	s_cmp_eq_u32 s4, 1
	s_cselect_b32 vcc_lo, -1, 0
	v_cndmask_b32_e32 v7, v2, v3, vcc_lo
	s_delay_alu instid0(VALU_DEP_1)
	v_cmp_neq_f32_e32 vcc_lo, 0, v7
	v_mov_b32_e32 v7, 0
	s_and_saveexec_b32 s6, vcc_lo
	s_cbranch_execz .LBB11_13
; %bb.17:                               ;   in Loop: Header=BB11_15 Depth=1
	ds_load_b32 v7, v6
	s_cmp_eq_u32 s4, 1
	s_cselect_b32 vcc_lo, -1, 0
	v_cndmask_b32_e32 v9, v4, v8, vcc_lo
	s_waitcnt lgkmcnt(0)
	s_delay_alu instid0(VALU_DEP_1) | instskip(NEXT) | instid1(VALU_DEP_1)
	v_div_scale_f32 v10, null, v9, v9, v7
	v_rcp_f32_e32 v11, v10
	s_waitcnt_depctr 0xfff
	v_fma_f32 v12, -v10, v11, 1.0
	s_delay_alu instid0(VALU_DEP_1) | instskip(SKIP_1) | instid1(VALU_DEP_1)
	v_fmac_f32_e32 v11, v12, v11
	v_div_scale_f32 v12, vcc_lo, v7, v9, v7
	v_mul_f32_e32 v13, v12, v11
	s_delay_alu instid0(VALU_DEP_1) | instskip(NEXT) | instid1(VALU_DEP_1)
	v_fma_f32 v14, -v10, v13, v12
	v_fmac_f32_e32 v13, v14, v11
	s_delay_alu instid0(VALU_DEP_1) | instskip(NEXT) | instid1(VALU_DEP_1)
	v_fma_f32 v10, -v10, v13, v12
	v_div_fmas_f32 v10, v10, v11, v13
	s_delay_alu instid0(VALU_DEP_1) | instskip(NEXT) | instid1(VALU_DEP_1)
	v_div_fixup_f32 v7, v10, v9, v7
	v_and_b32_e32 v9, 0x7f800000, v7
	s_delay_alu instid0(VALU_DEP_1) | instskip(SKIP_1) | instid1(SALU_CYCLE_1)
	v_cmp_ne_u32_e32 vcc_lo, 0x7f800000, v9
                                        ; implicit-def: $vgpr9
	s_and_saveexec_b32 s7, vcc_lo
	s_xor_b32 s7, exec_lo, s7
; %bb.18:                               ;   in Loop: Header=BB11_15 Depth=1
	v_bfe_u32 v9, v7, 16, 1
	s_delay_alu instid0(VALU_DEP_1)
	v_add3_u32 v9, v7, v9, 0x7fff
                                        ; implicit-def: $vgpr7
; %bb.19:                               ;   in Loop: Header=BB11_15 Depth=1
	s_and_not1_saveexec_b32 s7, s7
	s_cbranch_execz .LBB11_12
; %bb.20:                               ;   in Loop: Header=BB11_15 Depth=1
	v_and_b32_e32 v9, 0xffff, v7
	v_or_b32_e32 v10, 0x10000, v7
	s_delay_alu instid0(VALU_DEP_2) | instskip(NEXT) | instid1(VALU_DEP_2)
	v_cmp_eq_u32_e32 vcc_lo, 0, v9
	v_cndmask_b32_e32 v9, v10, v7, vcc_lo
	s_branch .LBB11_12
.LBB11_21:
	s_nop 0
	s_sendmsg sendmsg(MSG_DEALLOC_VGPRS)
	s_endpgm
	.section	.rodata,"a",@progbits
	.p2align	6, 0x0
	.amdhsa_kernel _Z34scaled_masked_softmax_warp_forwardI14__hip_bfloat16S0_fLi0EEvPT0_PKT_PKhT1_iii
		.amdhsa_group_segment_fixed_size 8192
		.amdhsa_private_segment_fixed_size 0
		.amdhsa_kernarg_size 296
		.amdhsa_user_sgpr_count 13
		.amdhsa_user_sgpr_dispatch_ptr 1
		.amdhsa_user_sgpr_queue_ptr 0
		.amdhsa_user_sgpr_kernarg_segment_ptr 1
		.amdhsa_user_sgpr_dispatch_id 0
		.amdhsa_user_sgpr_private_segment_size 0
		.amdhsa_wavefront_size32 1
		.amdhsa_uses_dynamic_stack 0
		.amdhsa_enable_private_segment 0
		.amdhsa_system_sgpr_workgroup_id_x 1
		.amdhsa_system_sgpr_workgroup_id_y 1
		.amdhsa_system_sgpr_workgroup_id_z 1
		.amdhsa_system_sgpr_workgroup_info 0
		.amdhsa_system_vgpr_workitem_id 2
		.amdhsa_next_free_vgpr 15
		.amdhsa_next_free_sgpr 18
		.amdhsa_reserve_vcc 1
		.amdhsa_float_round_mode_32 0
		.amdhsa_float_round_mode_16_64 0
		.amdhsa_float_denorm_mode_32 3
		.amdhsa_float_denorm_mode_16_64 3
		.amdhsa_dx10_clamp 1
		.amdhsa_ieee_mode 1
		.amdhsa_fp16_overflow 0
		.amdhsa_workgroup_processor_mode 1
		.amdhsa_memory_ordered 1
		.amdhsa_forward_progress 0
		.amdhsa_shared_vgpr_count 0
		.amdhsa_exception_fp_ieee_invalid_op 0
		.amdhsa_exception_fp_denorm_src 0
		.amdhsa_exception_fp_ieee_div_zero 0
		.amdhsa_exception_fp_ieee_overflow 0
		.amdhsa_exception_fp_ieee_underflow 0
		.amdhsa_exception_fp_ieee_inexact 0
		.amdhsa_exception_int_div_zero 0
	.end_amdhsa_kernel
	.section	.text._Z34scaled_masked_softmax_warp_forwardI14__hip_bfloat16S0_fLi0EEvPT0_PKT_PKhT1_iii,"axG",@progbits,_Z34scaled_masked_softmax_warp_forwardI14__hip_bfloat16S0_fLi0EEvPT0_PKT_PKhT1_iii,comdat
.Lfunc_end11:
	.size	_Z34scaled_masked_softmax_warp_forwardI14__hip_bfloat16S0_fLi0EEvPT0_PKT_PKhT1_iii, .Lfunc_end11-_Z34scaled_masked_softmax_warp_forwardI14__hip_bfloat16S0_fLi0EEvPT0_PKT_PKhT1_iii
                                        ; -- End function
	.section	.AMDGPU.csdata,"",@progbits
; Kernel info:
; codeLenInByte = 1240
; NumSgprs: 20
; NumVgprs: 15
; ScratchSize: 0
; MemoryBound: 0
; FloatMode: 240
; IeeeMode: 1
; LDSByteSize: 8192 bytes/workgroup (compile time only)
; SGPRBlocks: 2
; VGPRBlocks: 1
; NumSGPRsForWavesPerEU: 20
; NumVGPRsForWavesPerEU: 15
; Occupancy: 16
; WaveLimiterHint : 0
; COMPUTE_PGM_RSRC2:SCRATCH_EN: 0
; COMPUTE_PGM_RSRC2:USER_SGPR: 13
; COMPUTE_PGM_RSRC2:TRAP_HANDLER: 0
; COMPUTE_PGM_RSRC2:TGID_X_EN: 1
; COMPUTE_PGM_RSRC2:TGID_Y_EN: 1
; COMPUTE_PGM_RSRC2:TGID_Z_EN: 1
; COMPUTE_PGM_RSRC2:TIDIG_COMP_CNT: 2
	.section	.text._Z34scaled_masked_softmax_warp_forwardI14__hip_bfloat16S0_fLi1EEvPT0_PKT_PKhT1_iii,"axG",@progbits,_Z34scaled_masked_softmax_warp_forwardI14__hip_bfloat16S0_fLi1EEvPT0_PKT_PKhT1_iii,comdat
	.protected	_Z34scaled_masked_softmax_warp_forwardI14__hip_bfloat16S0_fLi1EEvPT0_PKT_PKhT1_iii ; -- Begin function _Z34scaled_masked_softmax_warp_forwardI14__hip_bfloat16S0_fLi1EEvPT0_PKT_PKhT1_iii
	.globl	_Z34scaled_masked_softmax_warp_forwardI14__hip_bfloat16S0_fLi1EEvPT0_PKT_PKhT1_iii
	.p2align	8
	.type	_Z34scaled_masked_softmax_warp_forwardI14__hip_bfloat16S0_fLi1EEvPT0_PKT_PKhT1_iii,@function
_Z34scaled_masked_softmax_warp_forwardI14__hip_bfloat16S0_fLi1EEvPT0_PKT_PKhT1_iii: ; @_Z34scaled_masked_softmax_warp_forwardI14__hip_bfloat16S0_fLi1EEvPT0_PKT_PKhT1_iii
; %bb.0:
	s_clause 0x2
	s_load_b32 s10, s[2:3], 0x34
	s_load_b128 s[4:7], s[2:3], 0x18
	s_load_b64 s[8:9], s[2:3], 0x28
	s_waitcnt lgkmcnt(0)
	s_lshr_b32 s10, s10, 16
	s_cmp_eq_u32 s7, 1
	s_mov_b32 s7, s13
	s_cbranch_scc1 .LBB12_2
; %bb.1:
	s_mul_i32 s7, s8, s15
	s_delay_alu instid0(SALU_CYCLE_1)
	s_add_i32 s7, s7, s13
.LBB12_2:
	s_load_b64 s[16:17], s[0:1], 0x4
	s_mul_i32 s0, s9, s15
	v_bfe_u32 v2, v0, 10, 10
	s_add_i32 s0, s0, s14
	v_and_b32_e32 v7, 0x3ff, v0
	s_mul_i32 s1, s8, s0
	s_and_b32 s0, 0xffff, s10
	s_add_i32 s1, s1, s13
	s_clause 0x1
	s_load_b128 s[8:11], s[2:3], 0x0
	s_load_b64 s[2:3], s[2:3], 0x10
	v_mad_u64_u32 v[3:4], null, s1, s0, v[2:3]
	v_bfe_u32 v0, v0, 20, 10
	s_mov_b32 s12, 0
	s_delay_alu instid0(VALU_DEP_2) | instskip(SKIP_3) | instid1(VALU_DEP_2)
	v_lshlrev_b32_e32 v1, 1, v3
	v_mul_lo_u32 v3, s6, v3
	s_waitcnt lgkmcnt(0)
	s_lshr_b32 s1, s16, 16
	v_sub_nc_u32_e32 v1, s5, v1
	s_mul_i32 s1, s1, s17
	s_delay_alu instid0(SALU_CYCLE_1) | instskip(NEXT) | instid1(VALU_DEP_2)
	v_mul_lo_u32 v4, s1, v7
	v_min_i32_e32 v5, 2, v1
	v_cmp_lt_i32_e32 vcc_lo, 0, v1
                                        ; implicit-def: $vgpr1
	s_delay_alu instid0(VALU_DEP_2) | instskip(NEXT) | instid1(VALU_DEP_4)
	v_max_i32_e32 v5, 1, v5
	v_mad_u32_u24 v4, v2, s17, v4
	s_delay_alu instid0(VALU_DEP_1)
	v_add_lshl_u32 v6, v4, v0, 3
	v_lshl_add_u32 v0, v3, 1, v7
	s_and_saveexec_b32 s5, vcc_lo
	s_cbranch_execz .LBB12_10
; %bb.3:
	v_mad_u64_u32 v[3:4], null, s7, s0, v[2:3]
	s_delay_alu instid0(VALU_DEP_2) | instskip(SKIP_3) | instid1(VALU_DEP_4)
	v_ashrrev_i32_e32 v1, 31, v0
	v_cmp_gt_i32_e64 s0, s6, v7
	v_dual_mov_b32 v8, v5 :: v_dual_mov_b32 v9, v6
	s_ashr_i32 s7, s6, 31
	v_mul_lo_u32 v2, s6, v3
	s_delay_alu instid0(VALU_DEP_1) | instskip(SKIP_1) | instid1(VALU_DEP_2)
	v_lshl_add_u32 v3, v2, 1, v7
	v_lshlrev_b64 v[1:2], 1, v[0:1]
	v_ashrrev_i32_e32 v4, 31, v3
	s_delay_alu instid0(VALU_DEP_2) | instskip(NEXT) | instid1(VALU_DEP_1)
	v_add_co_u32 v1, s1, s10, v1
	v_add_co_ci_u32_e64 v2, s1, s11, v2, s1
	v_add_co_u32 v3, s1, s2, v3
	s_delay_alu instid0(VALU_DEP_1)
	v_add_co_ci_u32_e64 v4, s1, s3, v4, s1
	s_lshl_b64 s[10:11], s[6:7], 1
	s_set_inst_prefetch_distance 0x1
	s_branch .LBB12_6
	.p2align	6
.LBB12_4:                               ;   in Loop: Header=BB12_6 Depth=1
	s_or_b32 exec_lo, exec_lo, s3
.LBB12_5:                               ;   in Loop: Header=BB12_6 Depth=1
	s_delay_alu instid0(SALU_CYCLE_1) | instskip(SKIP_2) | instid1(VALU_DEP_1)
	s_or_b32 exec_lo, exec_lo, s2
	v_add_nc_u32_e32 v8, -1, v8
	v_add_co_u32 v1, s1, v1, s10
	v_add_co_ci_u32_e64 v2, s1, s11, v2, s1
	s_delay_alu instid0(VALU_DEP_3)
	v_cmp_eq_u32_e64 s1, 0, v8
	v_add_co_u32 v3, s2, v3, s6
	ds_store_b32 v9, v10
	v_add_nc_u32_e32 v9, 4, v9
	v_add_co_ci_u32_e64 v4, s2, s7, v4, s2
	s_or_b32 s12, s1, s12
	s_delay_alu instid0(SALU_CYCLE_1)
	s_and_not1_b32 exec_lo, exec_lo, s12
	s_cbranch_execz .LBB12_9
.LBB12_6:                               ; =>This Inner Loop Header: Depth=1
	v_mov_b32_e32 v10, 0xff800000
	s_and_saveexec_b32 s2, s0
	s_cbranch_execz .LBB12_5
; %bb.7:                                ;   in Loop: Header=BB12_6 Depth=1
	global_load_u8 v10, v[3:4], off
	s_waitcnt vmcnt(0)
	v_cmp_ne_u16_e64 s1, 1, v10
	v_mov_b32_e32 v10, 0xc61c4000
	s_delay_alu instid0(VALU_DEP_2)
	s_and_saveexec_b32 s3, s1
	s_cbranch_execz .LBB12_4
; %bb.8:                                ;   in Loop: Header=BB12_6 Depth=1
	global_load_u16 v10, v[1:2], off
	s_waitcnt vmcnt(0)
	v_lshlrev_b32_e32 v10, 16, v10
	s_delay_alu instid0(VALU_DEP_1)
	v_mul_f32_e32 v10, s4, v10
	s_branch .LBB12_4
.LBB12_9:
	s_set_inst_prefetch_distance 0x2
	s_or_b32 exec_lo, exec_lo, s12
	ds_load_2addr_b32 v[1:2], v6 offset1:1
.LBB12_10:
	s_or_b32 exec_lo, exec_lo, s5
	v_mbcnt_lo_u32_b32 v3, -1, 0
	s_mov_b32 s10, 0
	s_delay_alu instid0(VALU_DEP_1) | instskip(SKIP_1) | instid1(VALU_DEP_2)
	v_and_b32_e32 v4, 30, v3
	v_xor_b32_e32 v8, 1, v3
	v_add_nc_u32_e32 v4, 2, v4
	s_delay_alu instid0(VALU_DEP_1) | instskip(NEXT) | instid1(VALU_DEP_1)
	v_cmp_lt_i32_e64 s0, v8, v4
	v_cndmask_b32_e64 v3, v3, v8, s0
	s_delay_alu instid0(VALU_DEP_1)
	v_lshlrev_b32_e32 v11, 2, v3
	s_waitcnt lgkmcnt(0)
	ds_bpermute_b32 v3, v11, v1
	ds_bpermute_b32 v8, v11, v2
	s_waitcnt lgkmcnt(1)
	v_cmp_lt_f32_e64 s0, v1, v3
	s_delay_alu instid0(VALU_DEP_1) | instskip(SKIP_2) | instid1(VALU_DEP_1)
	v_cndmask_b32_e64 v4, v1, v3, s0
	s_waitcnt lgkmcnt(0)
	v_cmp_lt_f32_e64 s0, v2, v8
	v_cndmask_b32_e64 v3, v2, v8, s0
	s_delay_alu instid0(VALU_DEP_1) | instskip(NEXT) | instid1(VALU_DEP_1)
	v_dual_sub_f32 v1, v1, v4 :: v_dual_sub_f32 v2, v2, v3
	v_mul_f32_e32 v8, 0x3fb8aa3b, v1
	v_cmp_ngt_f32_e64 s0, 0xc2ce8ed0, v1
	s_delay_alu instid0(VALU_DEP_3) | instskip(NEXT) | instid1(VALU_DEP_3)
	v_mul_f32_e32 v9, 0x3fb8aa3b, v2
	v_fma_f32 v10, 0x3fb8aa3b, v1, -v8
	v_rndne_f32_e32 v12, v8
	s_delay_alu instid0(VALU_DEP_3) | instskip(SKIP_1) | instid1(VALU_DEP_2)
	v_fma_f32 v13, 0x3fb8aa3b, v2, -v9
	v_rndne_f32_e32 v14, v9
	v_dual_fmac_f32 v10, 0x32a5705f, v1 :: v_dual_fmac_f32 v13, 0x32a5705f, v2
	s_delay_alu instid0(VALU_DEP_2) | instskip(NEXT) | instid1(VALU_DEP_1)
	v_dual_sub_f32 v9, v9, v14 :: v_dual_sub_f32 v8, v8, v12
	v_dual_add_f32 v9, v9, v13 :: v_dual_add_f32 v8, v8, v10
	v_cvt_i32_f32_e32 v10, v12
	v_cvt_i32_f32_e32 v12, v14
	s_delay_alu instid0(VALU_DEP_3) | instskip(NEXT) | instid1(VALU_DEP_3)
	v_exp_f32_e32 v9, v9
	v_exp_f32_e32 v8, v8
	s_waitcnt_depctr 0xfff
	v_ldexp_f32 v9, v9, v12
	v_ldexp_f32 v8, v8, v10
	s_delay_alu instid0(VALU_DEP_1) | instskip(SKIP_1) | instid1(VALU_DEP_1)
	v_cndmask_b32_e64 v8, 0, v8, s0
	v_cmp_ngt_f32_e64 s0, 0xc2ce8ed0, v2
	v_cndmask_b32_e64 v9, 0, v9, s0
	v_cmp_nlt_f32_e64 s0, 0x42b17218, v1
	s_delay_alu instid0(VALU_DEP_1)
	v_cndmask_b32_e64 v8, 0x7f800000, v8, s0
	v_cmp_nlt_f32_e64 s0, 0x42b17218, v2
	ds_bpermute_b32 v10, v11, v8
	v_cndmask_b32_e64 v9, 0x7f800000, v9, s0
	ds_bpermute_b32 v11, v11, v9
	ds_store_2addr_b32 v6, v8, v9 offset1:1
	s_and_saveexec_b32 s0, vcc_lo
	s_cbranch_execz .LBB12_21
; %bb.11:
	v_ashrrev_i32_e32 v1, 31, v0
	v_cmp_eq_f32_e32 vcc_lo, 0xc61c4000, v4
	s_waitcnt lgkmcnt(2)
	v_add_f32_e32 v4, v8, v10
	s_waitcnt lgkmcnt(1)
	v_add_f32_e32 v8, v9, v11
	v_cmp_gt_i32_e64 s0, s6, v7
	v_lshlrev_b64 v[0:1], 1, v[0:1]
	v_cndmask_b32_e64 v2, 1.0, 0, vcc_lo
	v_cmp_eq_f32_e32 vcc_lo, 0xc61c4000, v3
	s_ashr_i32 s7, s6, 31
	s_mov_b64 s[4:5], 0
	s_lshl_b64 s[2:3], s[6:7], 1
	v_cndmask_b32_e64 v3, 1.0, 0, vcc_lo
	v_add_co_u32 v0, vcc_lo, s8, v0
	v_add_co_ci_u32_e32 v1, vcc_lo, s9, v1, vcc_lo
	s_branch .LBB12_15
.LBB12_12:                              ;   in Loop: Header=BB12_15 Depth=1
	s_or_b32 exec_lo, exec_lo, s7
	s_delay_alu instid0(VALU_DEP_1)
	v_lshrrev_b32_e32 v7, 16, v9
.LBB12_13:                              ;   in Loop: Header=BB12_15 Depth=1
	s_or_b32 exec_lo, exec_lo, s6
	global_store_b16 v[0:1], v7, off
.LBB12_14:                              ;   in Loop: Header=BB12_15 Depth=1
	s_or_b32 exec_lo, exec_lo, s1
	s_add_u32 s4, s4, 1
	v_add_co_u32 v0, s1, v0, s2
	v_cmp_eq_u32_e32 vcc_lo, s4, v5
	v_add_co_ci_u32_e64 v1, s1, s3, v1, s1
	v_add_nc_u32_e32 v6, 4, v6
	s_addc_u32 s5, s5, 0
	s_or_b32 s10, vcc_lo, s10
	s_delay_alu instid0(SALU_CYCLE_1)
	s_and_not1_b32 exec_lo, exec_lo, s10
	s_cbranch_execz .LBB12_21
.LBB12_15:                              ; =>This Inner Loop Header: Depth=1
	s_and_saveexec_b32 s1, s0
	s_cbranch_execz .LBB12_14
; %bb.16:                               ;   in Loop: Header=BB12_15 Depth=1
	s_cmp_eq_u32 s4, 1
	s_cselect_b32 vcc_lo, -1, 0
	v_cndmask_b32_e32 v7, v2, v3, vcc_lo
	s_delay_alu instid0(VALU_DEP_1)
	v_cmp_neq_f32_e32 vcc_lo, 0, v7
	v_mov_b32_e32 v7, 0
	s_and_saveexec_b32 s6, vcc_lo
	s_cbranch_execz .LBB12_13
; %bb.17:                               ;   in Loop: Header=BB12_15 Depth=1
	ds_load_b32 v7, v6
	s_cmp_eq_u32 s4, 1
	s_cselect_b32 vcc_lo, -1, 0
	v_cndmask_b32_e32 v9, v4, v8, vcc_lo
	s_waitcnt lgkmcnt(0)
	s_delay_alu instid0(VALU_DEP_1) | instskip(NEXT) | instid1(VALU_DEP_1)
	v_div_scale_f32 v10, null, v9, v9, v7
	v_rcp_f32_e32 v11, v10
	s_waitcnt_depctr 0xfff
	v_fma_f32 v12, -v10, v11, 1.0
	s_delay_alu instid0(VALU_DEP_1) | instskip(SKIP_1) | instid1(VALU_DEP_1)
	v_fmac_f32_e32 v11, v12, v11
	v_div_scale_f32 v12, vcc_lo, v7, v9, v7
	v_mul_f32_e32 v13, v12, v11
	s_delay_alu instid0(VALU_DEP_1) | instskip(NEXT) | instid1(VALU_DEP_1)
	v_fma_f32 v14, -v10, v13, v12
	v_fmac_f32_e32 v13, v14, v11
	s_delay_alu instid0(VALU_DEP_1) | instskip(NEXT) | instid1(VALU_DEP_1)
	v_fma_f32 v10, -v10, v13, v12
	v_div_fmas_f32 v10, v10, v11, v13
	s_delay_alu instid0(VALU_DEP_1) | instskip(NEXT) | instid1(VALU_DEP_1)
	v_div_fixup_f32 v7, v10, v9, v7
	v_and_b32_e32 v9, 0x7f800000, v7
	s_delay_alu instid0(VALU_DEP_1) | instskip(SKIP_1) | instid1(SALU_CYCLE_1)
	v_cmp_ne_u32_e32 vcc_lo, 0x7f800000, v9
                                        ; implicit-def: $vgpr9
	s_and_saveexec_b32 s7, vcc_lo
	s_xor_b32 s7, exec_lo, s7
; %bb.18:                               ;   in Loop: Header=BB12_15 Depth=1
	v_bfe_u32 v9, v7, 16, 1
	s_delay_alu instid0(VALU_DEP_1)
	v_add3_u32 v9, v7, v9, 0x7fff
                                        ; implicit-def: $vgpr7
; %bb.19:                               ;   in Loop: Header=BB12_15 Depth=1
	s_and_not1_saveexec_b32 s7, s7
	s_cbranch_execz .LBB12_12
; %bb.20:                               ;   in Loop: Header=BB12_15 Depth=1
	v_and_b32_e32 v9, 0xffff, v7
	v_or_b32_e32 v10, 0x10000, v7
	s_delay_alu instid0(VALU_DEP_2) | instskip(NEXT) | instid1(VALU_DEP_2)
	v_cmp_eq_u32_e32 vcc_lo, 0, v9
	v_cndmask_b32_e32 v9, v10, v7, vcc_lo
	s_branch .LBB12_12
.LBB12_21:
	s_nop 0
	s_sendmsg sendmsg(MSG_DEALLOC_VGPRS)
	s_endpgm
	.section	.rodata,"a",@progbits
	.p2align	6, 0x0
	.amdhsa_kernel _Z34scaled_masked_softmax_warp_forwardI14__hip_bfloat16S0_fLi1EEvPT0_PKT_PKhT1_iii
		.amdhsa_group_segment_fixed_size 8192
		.amdhsa_private_segment_fixed_size 0
		.amdhsa_kernarg_size 296
		.amdhsa_user_sgpr_count 13
		.amdhsa_user_sgpr_dispatch_ptr 1
		.amdhsa_user_sgpr_queue_ptr 0
		.amdhsa_user_sgpr_kernarg_segment_ptr 1
		.amdhsa_user_sgpr_dispatch_id 0
		.amdhsa_user_sgpr_private_segment_size 0
		.amdhsa_wavefront_size32 1
		.amdhsa_uses_dynamic_stack 0
		.amdhsa_enable_private_segment 0
		.amdhsa_system_sgpr_workgroup_id_x 1
		.amdhsa_system_sgpr_workgroup_id_y 1
		.amdhsa_system_sgpr_workgroup_id_z 1
		.amdhsa_system_sgpr_workgroup_info 0
		.amdhsa_system_vgpr_workitem_id 2
		.amdhsa_next_free_vgpr 15
		.amdhsa_next_free_sgpr 18
		.amdhsa_reserve_vcc 1
		.amdhsa_float_round_mode_32 0
		.amdhsa_float_round_mode_16_64 0
		.amdhsa_float_denorm_mode_32 3
		.amdhsa_float_denorm_mode_16_64 3
		.amdhsa_dx10_clamp 1
		.amdhsa_ieee_mode 1
		.amdhsa_fp16_overflow 0
		.amdhsa_workgroup_processor_mode 1
		.amdhsa_memory_ordered 1
		.amdhsa_forward_progress 0
		.amdhsa_shared_vgpr_count 0
		.amdhsa_exception_fp_ieee_invalid_op 0
		.amdhsa_exception_fp_denorm_src 0
		.amdhsa_exception_fp_ieee_div_zero 0
		.amdhsa_exception_fp_ieee_overflow 0
		.amdhsa_exception_fp_ieee_underflow 0
		.amdhsa_exception_fp_ieee_inexact 0
		.amdhsa_exception_int_div_zero 0
	.end_amdhsa_kernel
	.section	.text._Z34scaled_masked_softmax_warp_forwardI14__hip_bfloat16S0_fLi1EEvPT0_PKT_PKhT1_iii,"axG",@progbits,_Z34scaled_masked_softmax_warp_forwardI14__hip_bfloat16S0_fLi1EEvPT0_PKT_PKhT1_iii,comdat
.Lfunc_end12:
	.size	_Z34scaled_masked_softmax_warp_forwardI14__hip_bfloat16S0_fLi1EEvPT0_PKT_PKhT1_iii, .Lfunc_end12-_Z34scaled_masked_softmax_warp_forwardI14__hip_bfloat16S0_fLi1EEvPT0_PKT_PKhT1_iii
                                        ; -- End function
	.section	.AMDGPU.csdata,"",@progbits
; Kernel info:
; codeLenInByte = 1380
; NumSgprs: 20
; NumVgprs: 15
; ScratchSize: 0
; MemoryBound: 0
; FloatMode: 240
; IeeeMode: 1
; LDSByteSize: 8192 bytes/workgroup (compile time only)
; SGPRBlocks: 2
; VGPRBlocks: 1
; NumSGPRsForWavesPerEU: 20
; NumVGPRsForWavesPerEU: 15
; Occupancy: 16
; WaveLimiterHint : 0
; COMPUTE_PGM_RSRC2:SCRATCH_EN: 0
; COMPUTE_PGM_RSRC2:USER_SGPR: 13
; COMPUTE_PGM_RSRC2:TRAP_HANDLER: 0
; COMPUTE_PGM_RSRC2:TGID_X_EN: 1
; COMPUTE_PGM_RSRC2:TGID_Y_EN: 1
; COMPUTE_PGM_RSRC2:TGID_Z_EN: 1
; COMPUTE_PGM_RSRC2:TIDIG_COMP_CNT: 2
	.section	.text._Z34scaled_masked_softmax_warp_forwardI14__hip_bfloat16S0_fLi2EEvPT0_PKT_PKhT1_iii,"axG",@progbits,_Z34scaled_masked_softmax_warp_forwardI14__hip_bfloat16S0_fLi2EEvPT0_PKT_PKhT1_iii,comdat
	.protected	_Z34scaled_masked_softmax_warp_forwardI14__hip_bfloat16S0_fLi2EEvPT0_PKT_PKhT1_iii ; -- Begin function _Z34scaled_masked_softmax_warp_forwardI14__hip_bfloat16S0_fLi2EEvPT0_PKT_PKhT1_iii
	.globl	_Z34scaled_masked_softmax_warp_forwardI14__hip_bfloat16S0_fLi2EEvPT0_PKT_PKhT1_iii
	.p2align	8
	.type	_Z34scaled_masked_softmax_warp_forwardI14__hip_bfloat16S0_fLi2EEvPT0_PKT_PKhT1_iii,@function
_Z34scaled_masked_softmax_warp_forwardI14__hip_bfloat16S0_fLi2EEvPT0_PKT_PKhT1_iii: ; @_Z34scaled_masked_softmax_warp_forwardI14__hip_bfloat16S0_fLi2EEvPT0_PKT_PKhT1_iii
; %bb.0:
	s_clause 0x2
	s_load_b32 s10, s[2:3], 0x34
	s_load_b128 s[4:7], s[2:3], 0x18
	s_load_b64 s[8:9], s[2:3], 0x28
	s_waitcnt lgkmcnt(0)
	s_lshr_b32 s10, s10, 16
	s_cmp_eq_u32 s7, 1
	s_mov_b32 s7, s13
	s_cbranch_scc1 .LBB13_2
; %bb.1:
	s_mul_i32 s7, s8, s15
	s_delay_alu instid0(SALU_CYCLE_1)
	s_add_i32 s7, s7, s13
.LBB13_2:
	s_load_b64 s[16:17], s[0:1], 0x4
	s_mul_i32 s0, s9, s15
	v_bfe_u32 v2, v0, 10, 10
	s_add_i32 s0, s0, s14
	v_and_b32_e32 v7, 0x3ff, v0
	s_mul_i32 s1, s8, s0
	s_and_b32 s0, 0xffff, s10
	s_add_i32 s1, s1, s13
	s_clause 0x1
	s_load_b128 s[8:11], s[2:3], 0x0
	s_load_b64 s[2:3], s[2:3], 0x10
	v_mad_u64_u32 v[3:4], null, s1, s0, v[2:3]
	v_bfe_u32 v0, v0, 20, 10
	s_mov_b32 s12, 0
	s_delay_alu instid0(VALU_DEP_2) | instskip(SKIP_3) | instid1(VALU_DEP_2)
	v_lshlrev_b32_e32 v1, 1, v3
	v_mul_lo_u32 v3, s6, v3
	s_waitcnt lgkmcnt(0)
	s_lshr_b32 s1, s16, 16
	v_sub_nc_u32_e32 v1, s5, v1
	s_mul_i32 s1, s1, s17
	s_delay_alu instid0(SALU_CYCLE_1) | instskip(NEXT) | instid1(VALU_DEP_2)
	v_mul_lo_u32 v4, s1, v7
	v_min_i32_e32 v5, 2, v1
	v_cmp_lt_i32_e32 vcc_lo, 0, v1
                                        ; implicit-def: $vgpr1
	s_delay_alu instid0(VALU_DEP_2) | instskip(NEXT) | instid1(VALU_DEP_4)
	v_max_i32_e32 v5, 1, v5
	v_mad_u32_u24 v4, v2, s17, v4
	s_delay_alu instid0(VALU_DEP_1)
	v_add_lshl_u32 v6, v4, v0, 3
	v_lshl_add_u32 v0, v3, 1, v7
	s_and_saveexec_b32 s5, vcc_lo
	s_cbranch_execz .LBB13_10
; %bb.3:
	v_mad_u64_u32 v[3:4], null, s7, s0, v[2:3]
	s_delay_alu instid0(VALU_DEP_2) | instskip(SKIP_3) | instid1(VALU_DEP_4)
	v_ashrrev_i32_e32 v1, 31, v0
	v_cmp_gt_i32_e64 s0, s6, v7
	v_dual_mov_b32 v8, v5 :: v_dual_mov_b32 v9, v6
	s_ashr_i32 s7, s6, 31
	v_mul_lo_u32 v2, s6, v3
	s_delay_alu instid0(VALU_DEP_1) | instskip(SKIP_1) | instid1(VALU_DEP_2)
	v_lshl_add_u32 v3, v2, 1, v7
	v_lshlrev_b64 v[1:2], 1, v[0:1]
	v_ashrrev_i32_e32 v4, 31, v3
	s_delay_alu instid0(VALU_DEP_2) | instskip(NEXT) | instid1(VALU_DEP_1)
	v_add_co_u32 v1, s1, s10, v1
	v_add_co_ci_u32_e64 v2, s1, s11, v2, s1
	v_add_co_u32 v3, s1, s2, v3
	s_delay_alu instid0(VALU_DEP_1)
	v_add_co_ci_u32_e64 v4, s1, s3, v4, s1
	s_lshl_b64 s[10:11], s[6:7], 1
	s_set_inst_prefetch_distance 0x1
	s_branch .LBB13_6
	.p2align	6
.LBB13_4:                               ;   in Loop: Header=BB13_6 Depth=1
	s_or_b32 exec_lo, exec_lo, s3
.LBB13_5:                               ;   in Loop: Header=BB13_6 Depth=1
	s_delay_alu instid0(SALU_CYCLE_1) | instskip(SKIP_2) | instid1(VALU_DEP_1)
	s_or_b32 exec_lo, exec_lo, s2
	v_add_nc_u32_e32 v8, -1, v8
	v_add_co_u32 v1, s1, v1, s10
	v_add_co_ci_u32_e64 v2, s1, s11, v2, s1
	s_delay_alu instid0(VALU_DEP_3)
	v_cmp_eq_u32_e64 s1, 0, v8
	v_add_co_u32 v3, s2, v3, s6
	ds_store_b32 v9, v10
	v_add_nc_u32_e32 v9, 4, v9
	v_add_co_ci_u32_e64 v4, s2, s7, v4, s2
	s_or_b32 s12, s1, s12
	s_delay_alu instid0(SALU_CYCLE_1)
	s_and_not1_b32 exec_lo, exec_lo, s12
	s_cbranch_execz .LBB13_9
.LBB13_6:                               ; =>This Inner Loop Header: Depth=1
	v_mov_b32_e32 v10, 0xff800000
	s_and_saveexec_b32 s2, s0
	s_cbranch_execz .LBB13_5
; %bb.7:                                ;   in Loop: Header=BB13_6 Depth=1
	global_load_u8 v10, v[3:4], off
	s_waitcnt vmcnt(0)
	v_cmp_ne_u16_e64 s1, 1, v10
	v_mov_b32_e32 v10, 0xc61c4000
	s_delay_alu instid0(VALU_DEP_2)
	s_and_saveexec_b32 s3, s1
	s_cbranch_execz .LBB13_4
; %bb.8:                                ;   in Loop: Header=BB13_6 Depth=1
	global_load_u16 v10, v[1:2], off
	s_waitcnt vmcnt(0)
	v_lshlrev_b32_e32 v10, 16, v10
	s_delay_alu instid0(VALU_DEP_1)
	v_mul_f32_e32 v10, s4, v10
	s_branch .LBB13_4
.LBB13_9:
	s_set_inst_prefetch_distance 0x2
	s_or_b32 exec_lo, exec_lo, s12
	ds_load_2addr_b32 v[1:2], v6 offset1:1
.LBB13_10:
	s_or_b32 exec_lo, exec_lo, s5
	v_mbcnt_lo_u32_b32 v3, -1, 0
	s_mov_b32 s10, 0
	s_delay_alu instid0(VALU_DEP_1) | instskip(SKIP_2) | instid1(VALU_DEP_3)
	v_and_b32_e32 v4, 28, v3
	v_xor_b32_e32 v8, 2, v3
	v_xor_b32_e32 v11, 1, v3
	v_add_nc_u32_e32 v4, 4, v4
	s_delay_alu instid0(VALU_DEP_1) | instskip(NEXT) | instid1(VALU_DEP_1)
	v_cmp_lt_i32_e64 s0, v8, v4
	v_cndmask_b32_e64 v8, v3, v8, s0
	s_delay_alu instid0(VALU_DEP_4) | instskip(NEXT) | instid1(VALU_DEP_2)
	v_cmp_lt_i32_e64 s0, v11, v4
	v_lshlrev_b32_e32 v8, 2, v8
	s_delay_alu instid0(VALU_DEP_2)
	v_cndmask_b32_e64 v3, v3, v11, s0
	s_waitcnt lgkmcnt(0)
	ds_bpermute_b32 v9, v8, v1
	ds_bpermute_b32 v10, v8, v2
	v_lshlrev_b32_e32 v11, 2, v3
	s_waitcnt lgkmcnt(1)
	v_cmp_lt_f32_e64 s0, v1, v9
	s_delay_alu instid0(VALU_DEP_1)
	v_cndmask_b32_e64 v3, v1, v9, s0
	s_waitcnt lgkmcnt(0)
	v_cmp_lt_f32_e64 s0, v2, v10
	ds_bpermute_b32 v4, v11, v3
	v_cndmask_b32_e64 v9, v2, v10, s0
	ds_bpermute_b32 v10, v11, v9
	s_waitcnt lgkmcnt(1)
	v_cmp_lt_f32_e64 s0, v3, v4
	s_delay_alu instid0(VALU_DEP_1) | instskip(SKIP_2) | instid1(VALU_DEP_1)
	v_cndmask_b32_e64 v4, v3, v4, s0
	s_waitcnt lgkmcnt(0)
	v_cmp_lt_f32_e64 s0, v9, v10
	v_cndmask_b32_e64 v3, v9, v10, s0
	s_delay_alu instid0(VALU_DEP_1) | instskip(NEXT) | instid1(VALU_DEP_1)
	v_dual_sub_f32 v1, v1, v4 :: v_dual_sub_f32 v2, v2, v3
	v_mul_f32_e32 v9, 0x3fb8aa3b, v1
	v_cmp_ngt_f32_e64 s0, 0xc2ce8ed0, v1
	s_delay_alu instid0(VALU_DEP_3) | instskip(NEXT) | instid1(VALU_DEP_3)
	v_mul_f32_e32 v10, 0x3fb8aa3b, v2
	v_fma_f32 v12, 0x3fb8aa3b, v1, -v9
	v_rndne_f32_e32 v13, v9
	s_delay_alu instid0(VALU_DEP_3) | instskip(SKIP_1) | instid1(VALU_DEP_4)
	v_fma_f32 v14, 0x3fb8aa3b, v2, -v10
	v_rndne_f32_e32 v15, v10
	v_fmac_f32_e32 v12, 0x32a5705f, v1
	s_delay_alu instid0(VALU_DEP_3) | instskip(NEXT) | instid1(VALU_DEP_1)
	v_dual_sub_f32 v9, v9, v13 :: v_dual_fmac_f32 v14, 0x32a5705f, v2
	v_dual_sub_f32 v10, v10, v15 :: v_dual_add_f32 v9, v9, v12
	v_cvt_i32_f32_e32 v12, v13
	v_cvt_i32_f32_e32 v13, v15
	s_delay_alu instid0(VALU_DEP_3) | instskip(NEXT) | instid1(VALU_DEP_4)
	v_add_f32_e32 v10, v10, v14
	v_exp_f32_e32 v9, v9
	s_delay_alu instid0(VALU_DEP_1) | instskip(SKIP_3) | instid1(VALU_DEP_2)
	v_exp_f32_e32 v10, v10
	s_waitcnt_depctr 0xfff
	v_ldexp_f32 v9, v9, v12
	v_ldexp_f32 v10, v10, v13
	v_cndmask_b32_e64 v9, 0, v9, s0
	v_cmp_ngt_f32_e64 s0, 0xc2ce8ed0, v2
	s_delay_alu instid0(VALU_DEP_1) | instskip(SKIP_1) | instid1(VALU_DEP_1)
	v_cndmask_b32_e64 v10, 0, v10, s0
	v_cmp_nlt_f32_e64 s0, 0x42b17218, v1
	v_cndmask_b32_e64 v1, 0x7f800000, v9, s0
	v_cmp_nlt_f32_e64 s0, 0x42b17218, v2
	ds_bpermute_b32 v9, v8, v1
	v_cndmask_b32_e64 v2, 0x7f800000, v10, s0
	ds_bpermute_b32 v10, v8, v2
	ds_store_2addr_b32 v6, v1, v2 offset1:1
	s_waitcnt lgkmcnt(1)
	v_dual_add_f32 v8, v1, v9 :: v_dual_add_f32 v9, v2, v10
	ds_bpermute_b32 v10, v11, v8
	ds_bpermute_b32 v11, v11, v9
	s_and_saveexec_b32 s0, vcc_lo
	s_cbranch_execz .LBB13_21
; %bb.11:
	v_ashrrev_i32_e32 v1, 31, v0
	v_cmp_eq_f32_e32 vcc_lo, 0xc61c4000, v4
	s_waitcnt lgkmcnt(1)
	v_add_f32_e32 v4, v8, v10
	s_waitcnt lgkmcnt(0)
	v_add_f32_e32 v8, v9, v11
	v_cmp_gt_i32_e64 s0, s6, v7
	v_lshlrev_b64 v[0:1], 1, v[0:1]
	v_cndmask_b32_e64 v2, 1.0, 0, vcc_lo
	v_cmp_eq_f32_e32 vcc_lo, 0xc61c4000, v3
	s_ashr_i32 s7, s6, 31
	s_mov_b64 s[4:5], 0
	s_lshl_b64 s[2:3], s[6:7], 1
	v_cndmask_b32_e64 v3, 1.0, 0, vcc_lo
	v_add_co_u32 v0, vcc_lo, s8, v0
	v_add_co_ci_u32_e32 v1, vcc_lo, s9, v1, vcc_lo
	s_branch .LBB13_15
.LBB13_12:                              ;   in Loop: Header=BB13_15 Depth=1
	s_or_b32 exec_lo, exec_lo, s7
	s_delay_alu instid0(VALU_DEP_1)
	v_lshrrev_b32_e32 v7, 16, v9
.LBB13_13:                              ;   in Loop: Header=BB13_15 Depth=1
	s_or_b32 exec_lo, exec_lo, s6
	global_store_b16 v[0:1], v7, off
.LBB13_14:                              ;   in Loop: Header=BB13_15 Depth=1
	s_or_b32 exec_lo, exec_lo, s1
	s_add_u32 s4, s4, 1
	v_add_co_u32 v0, s1, v0, s2
	v_cmp_eq_u32_e32 vcc_lo, s4, v5
	v_add_co_ci_u32_e64 v1, s1, s3, v1, s1
	v_add_nc_u32_e32 v6, 4, v6
	s_addc_u32 s5, s5, 0
	s_or_b32 s10, vcc_lo, s10
	s_delay_alu instid0(SALU_CYCLE_1)
	s_and_not1_b32 exec_lo, exec_lo, s10
	s_cbranch_execz .LBB13_21
.LBB13_15:                              ; =>This Inner Loop Header: Depth=1
	s_and_saveexec_b32 s1, s0
	s_cbranch_execz .LBB13_14
; %bb.16:                               ;   in Loop: Header=BB13_15 Depth=1
	s_cmp_eq_u32 s4, 1
	s_cselect_b32 vcc_lo, -1, 0
	v_cndmask_b32_e32 v7, v2, v3, vcc_lo
	s_delay_alu instid0(VALU_DEP_1)
	v_cmp_neq_f32_e32 vcc_lo, 0, v7
	v_mov_b32_e32 v7, 0
	s_and_saveexec_b32 s6, vcc_lo
	s_cbranch_execz .LBB13_13
; %bb.17:                               ;   in Loop: Header=BB13_15 Depth=1
	ds_load_b32 v7, v6
	s_cmp_eq_u32 s4, 1
	s_cselect_b32 vcc_lo, -1, 0
	v_cndmask_b32_e32 v9, v4, v8, vcc_lo
	s_waitcnt lgkmcnt(0)
	s_delay_alu instid0(VALU_DEP_1) | instskip(NEXT) | instid1(VALU_DEP_1)
	v_div_scale_f32 v10, null, v9, v9, v7
	v_rcp_f32_e32 v11, v10
	s_waitcnt_depctr 0xfff
	v_fma_f32 v12, -v10, v11, 1.0
	s_delay_alu instid0(VALU_DEP_1) | instskip(SKIP_1) | instid1(VALU_DEP_1)
	v_fmac_f32_e32 v11, v12, v11
	v_div_scale_f32 v12, vcc_lo, v7, v9, v7
	v_mul_f32_e32 v13, v12, v11
	s_delay_alu instid0(VALU_DEP_1) | instskip(NEXT) | instid1(VALU_DEP_1)
	v_fma_f32 v14, -v10, v13, v12
	v_fmac_f32_e32 v13, v14, v11
	s_delay_alu instid0(VALU_DEP_1) | instskip(NEXT) | instid1(VALU_DEP_1)
	v_fma_f32 v10, -v10, v13, v12
	v_div_fmas_f32 v10, v10, v11, v13
	s_delay_alu instid0(VALU_DEP_1) | instskip(NEXT) | instid1(VALU_DEP_1)
	v_div_fixup_f32 v7, v10, v9, v7
	v_and_b32_e32 v9, 0x7f800000, v7
	s_delay_alu instid0(VALU_DEP_1) | instskip(SKIP_1) | instid1(SALU_CYCLE_1)
	v_cmp_ne_u32_e32 vcc_lo, 0x7f800000, v9
                                        ; implicit-def: $vgpr9
	s_and_saveexec_b32 s7, vcc_lo
	s_xor_b32 s7, exec_lo, s7
; %bb.18:                               ;   in Loop: Header=BB13_15 Depth=1
	v_bfe_u32 v9, v7, 16, 1
	s_delay_alu instid0(VALU_DEP_1)
	v_add3_u32 v9, v7, v9, 0x7fff
                                        ; implicit-def: $vgpr7
; %bb.19:                               ;   in Loop: Header=BB13_15 Depth=1
	s_and_not1_saveexec_b32 s7, s7
	s_cbranch_execz .LBB13_12
; %bb.20:                               ;   in Loop: Header=BB13_15 Depth=1
	v_and_b32_e32 v9, 0xffff, v7
	v_or_b32_e32 v10, 0x10000, v7
	s_delay_alu instid0(VALU_DEP_2) | instskip(NEXT) | instid1(VALU_DEP_2)
	v_cmp_eq_u32_e32 vcc_lo, 0, v9
	v_cndmask_b32_e32 v9, v10, v7, vcc_lo
	s_branch .LBB13_12
.LBB13_21:
	s_nop 0
	s_sendmsg sendmsg(MSG_DEALLOC_VGPRS)
	s_endpgm
	.section	.rodata,"a",@progbits
	.p2align	6, 0x0
	.amdhsa_kernel _Z34scaled_masked_softmax_warp_forwardI14__hip_bfloat16S0_fLi2EEvPT0_PKT_PKhT1_iii
		.amdhsa_group_segment_fixed_size 8192
		.amdhsa_private_segment_fixed_size 0
		.amdhsa_kernarg_size 296
		.amdhsa_user_sgpr_count 13
		.amdhsa_user_sgpr_dispatch_ptr 1
		.amdhsa_user_sgpr_queue_ptr 0
		.amdhsa_user_sgpr_kernarg_segment_ptr 1
		.amdhsa_user_sgpr_dispatch_id 0
		.amdhsa_user_sgpr_private_segment_size 0
		.amdhsa_wavefront_size32 1
		.amdhsa_uses_dynamic_stack 0
		.amdhsa_enable_private_segment 0
		.amdhsa_system_sgpr_workgroup_id_x 1
		.amdhsa_system_sgpr_workgroup_id_y 1
		.amdhsa_system_sgpr_workgroup_id_z 1
		.amdhsa_system_sgpr_workgroup_info 0
		.amdhsa_system_vgpr_workitem_id 2
		.amdhsa_next_free_vgpr 16
		.amdhsa_next_free_sgpr 18
		.amdhsa_reserve_vcc 1
		.amdhsa_float_round_mode_32 0
		.amdhsa_float_round_mode_16_64 0
		.amdhsa_float_denorm_mode_32 3
		.amdhsa_float_denorm_mode_16_64 3
		.amdhsa_dx10_clamp 1
		.amdhsa_ieee_mode 1
		.amdhsa_fp16_overflow 0
		.amdhsa_workgroup_processor_mode 1
		.amdhsa_memory_ordered 1
		.amdhsa_forward_progress 0
		.amdhsa_shared_vgpr_count 0
		.amdhsa_exception_fp_ieee_invalid_op 0
		.amdhsa_exception_fp_denorm_src 0
		.amdhsa_exception_fp_ieee_div_zero 0
		.amdhsa_exception_fp_ieee_overflow 0
		.amdhsa_exception_fp_ieee_underflow 0
		.amdhsa_exception_fp_ieee_inexact 0
		.amdhsa_exception_int_div_zero 0
	.end_amdhsa_kernel
	.section	.text._Z34scaled_masked_softmax_warp_forwardI14__hip_bfloat16S0_fLi2EEvPT0_PKT_PKhT1_iii,"axG",@progbits,_Z34scaled_masked_softmax_warp_forwardI14__hip_bfloat16S0_fLi2EEvPT0_PKT_PKhT1_iii,comdat
.Lfunc_end13:
	.size	_Z34scaled_masked_softmax_warp_forwardI14__hip_bfloat16S0_fLi2EEvPT0_PKT_PKhT1_iii, .Lfunc_end13-_Z34scaled_masked_softmax_warp_forwardI14__hip_bfloat16S0_fLi2EEvPT0_PKT_PKhT1_iii
                                        ; -- End function
	.section	.AMDGPU.csdata,"",@progbits
; Kernel info:
; codeLenInByte = 1500
; NumSgprs: 20
; NumVgprs: 16
; ScratchSize: 0
; MemoryBound: 0
; FloatMode: 240
; IeeeMode: 1
; LDSByteSize: 8192 bytes/workgroup (compile time only)
; SGPRBlocks: 2
; VGPRBlocks: 1
; NumSGPRsForWavesPerEU: 20
; NumVGPRsForWavesPerEU: 16
; Occupancy: 16
; WaveLimiterHint : 0
; COMPUTE_PGM_RSRC2:SCRATCH_EN: 0
; COMPUTE_PGM_RSRC2:USER_SGPR: 13
; COMPUTE_PGM_RSRC2:TRAP_HANDLER: 0
; COMPUTE_PGM_RSRC2:TGID_X_EN: 1
; COMPUTE_PGM_RSRC2:TGID_Y_EN: 1
; COMPUTE_PGM_RSRC2:TGID_Z_EN: 1
; COMPUTE_PGM_RSRC2:TIDIG_COMP_CNT: 2
	.section	.text._Z34scaled_masked_softmax_warp_forwardI14__hip_bfloat16S0_fLi3EEvPT0_PKT_PKhT1_iii,"axG",@progbits,_Z34scaled_masked_softmax_warp_forwardI14__hip_bfloat16S0_fLi3EEvPT0_PKT_PKhT1_iii,comdat
	.protected	_Z34scaled_masked_softmax_warp_forwardI14__hip_bfloat16S0_fLi3EEvPT0_PKT_PKhT1_iii ; -- Begin function _Z34scaled_masked_softmax_warp_forwardI14__hip_bfloat16S0_fLi3EEvPT0_PKT_PKhT1_iii
	.globl	_Z34scaled_masked_softmax_warp_forwardI14__hip_bfloat16S0_fLi3EEvPT0_PKT_PKhT1_iii
	.p2align	8
	.type	_Z34scaled_masked_softmax_warp_forwardI14__hip_bfloat16S0_fLi3EEvPT0_PKT_PKhT1_iii,@function
_Z34scaled_masked_softmax_warp_forwardI14__hip_bfloat16S0_fLi3EEvPT0_PKT_PKhT1_iii: ; @_Z34scaled_masked_softmax_warp_forwardI14__hip_bfloat16S0_fLi3EEvPT0_PKT_PKhT1_iii
; %bb.0:
	s_clause 0x2
	s_load_b32 s10, s[2:3], 0x34
	s_load_b128 s[4:7], s[2:3], 0x18
	s_load_b64 s[8:9], s[2:3], 0x28
	s_waitcnt lgkmcnt(0)
	s_lshr_b32 s10, s10, 16
	s_cmp_eq_u32 s7, 1
	s_mov_b32 s7, s13
	s_cbranch_scc1 .LBB14_2
; %bb.1:
	s_mul_i32 s7, s8, s15
	s_delay_alu instid0(SALU_CYCLE_1)
	s_add_i32 s7, s7, s13
.LBB14_2:
	s_load_b64 s[16:17], s[0:1], 0x4
	s_mul_i32 s0, s9, s15
	v_bfe_u32 v2, v0, 10, 10
	s_add_i32 s0, s0, s14
	v_and_b32_e32 v7, 0x3ff, v0
	s_mul_i32 s1, s8, s0
	s_and_b32 s0, 0xffff, s10
	s_add_i32 s1, s1, s13
	s_clause 0x1
	s_load_b128 s[8:11], s[2:3], 0x0
	s_load_b64 s[2:3], s[2:3], 0x10
	v_mad_u64_u32 v[3:4], null, s1, s0, v[2:3]
	v_bfe_u32 v0, v0, 20, 10
	s_mov_b32 s12, 0
	s_delay_alu instid0(VALU_DEP_2) | instskip(SKIP_3) | instid1(VALU_DEP_2)
	v_lshlrev_b32_e32 v1, 1, v3
	v_mul_lo_u32 v3, s6, v3
	s_waitcnt lgkmcnt(0)
	s_lshr_b32 s1, s16, 16
	v_sub_nc_u32_e32 v1, s5, v1
	s_mul_i32 s1, s1, s17
	s_delay_alu instid0(SALU_CYCLE_1) | instskip(NEXT) | instid1(VALU_DEP_2)
	v_mul_lo_u32 v4, s1, v7
	v_min_i32_e32 v5, 2, v1
	v_cmp_lt_i32_e32 vcc_lo, 0, v1
                                        ; implicit-def: $vgpr1
	s_delay_alu instid0(VALU_DEP_2) | instskip(NEXT) | instid1(VALU_DEP_4)
	v_max_i32_e32 v5, 1, v5
	v_mad_u32_u24 v4, v2, s17, v4
	s_delay_alu instid0(VALU_DEP_1)
	v_add_lshl_u32 v6, v4, v0, 3
	v_lshl_add_u32 v0, v3, 1, v7
	s_and_saveexec_b32 s5, vcc_lo
	s_cbranch_execz .LBB14_10
; %bb.3:
	v_mad_u64_u32 v[3:4], null, s7, s0, v[2:3]
	s_delay_alu instid0(VALU_DEP_2) | instskip(SKIP_3) | instid1(VALU_DEP_4)
	v_ashrrev_i32_e32 v1, 31, v0
	v_cmp_gt_i32_e64 s0, s6, v7
	v_dual_mov_b32 v8, v5 :: v_dual_mov_b32 v9, v6
	s_ashr_i32 s7, s6, 31
	v_mul_lo_u32 v2, s6, v3
	s_delay_alu instid0(VALU_DEP_1) | instskip(SKIP_1) | instid1(VALU_DEP_2)
	v_lshl_add_u32 v3, v2, 1, v7
	v_lshlrev_b64 v[1:2], 1, v[0:1]
	v_ashrrev_i32_e32 v4, 31, v3
	s_delay_alu instid0(VALU_DEP_2) | instskip(NEXT) | instid1(VALU_DEP_1)
	v_add_co_u32 v1, s1, s10, v1
	v_add_co_ci_u32_e64 v2, s1, s11, v2, s1
	v_add_co_u32 v3, s1, s2, v3
	s_delay_alu instid0(VALU_DEP_1)
	v_add_co_ci_u32_e64 v4, s1, s3, v4, s1
	s_lshl_b64 s[10:11], s[6:7], 1
	s_set_inst_prefetch_distance 0x1
	s_branch .LBB14_6
	.p2align	6
.LBB14_4:                               ;   in Loop: Header=BB14_6 Depth=1
	s_or_b32 exec_lo, exec_lo, s3
.LBB14_5:                               ;   in Loop: Header=BB14_6 Depth=1
	s_delay_alu instid0(SALU_CYCLE_1) | instskip(SKIP_2) | instid1(VALU_DEP_1)
	s_or_b32 exec_lo, exec_lo, s2
	v_add_nc_u32_e32 v8, -1, v8
	v_add_co_u32 v1, s1, v1, s10
	v_add_co_ci_u32_e64 v2, s1, s11, v2, s1
	s_delay_alu instid0(VALU_DEP_3)
	v_cmp_eq_u32_e64 s1, 0, v8
	v_add_co_u32 v3, s2, v3, s6
	ds_store_b32 v9, v10
	v_add_nc_u32_e32 v9, 4, v9
	v_add_co_ci_u32_e64 v4, s2, s7, v4, s2
	s_or_b32 s12, s1, s12
	s_delay_alu instid0(SALU_CYCLE_1)
	s_and_not1_b32 exec_lo, exec_lo, s12
	s_cbranch_execz .LBB14_9
.LBB14_6:                               ; =>This Inner Loop Header: Depth=1
	v_mov_b32_e32 v10, 0xff800000
	s_and_saveexec_b32 s2, s0
	s_cbranch_execz .LBB14_5
; %bb.7:                                ;   in Loop: Header=BB14_6 Depth=1
	global_load_u8 v10, v[3:4], off
	s_waitcnt vmcnt(0)
	v_cmp_ne_u16_e64 s1, 1, v10
	v_mov_b32_e32 v10, 0xc61c4000
	s_delay_alu instid0(VALU_DEP_2)
	s_and_saveexec_b32 s3, s1
	s_cbranch_execz .LBB14_4
; %bb.8:                                ;   in Loop: Header=BB14_6 Depth=1
	global_load_u16 v10, v[1:2], off
	s_waitcnt vmcnt(0)
	v_lshlrev_b32_e32 v10, 16, v10
	s_delay_alu instid0(VALU_DEP_1)
	v_mul_f32_e32 v10, s4, v10
	s_branch .LBB14_4
.LBB14_9:
	s_set_inst_prefetch_distance 0x2
	s_or_b32 exec_lo, exec_lo, s12
	ds_load_2addr_b32 v[1:2], v6 offset1:1
.LBB14_10:
	s_or_b32 exec_lo, exec_lo, s5
	v_mbcnt_lo_u32_b32 v3, -1, 0
	s_mov_b32 s10, 0
	s_delay_alu instid0(VALU_DEP_1) | instskip(SKIP_3) | instid1(VALU_DEP_4)
	v_and_b32_e32 v4, 24, v3
	v_xor_b32_e32 v8, 4, v3
	v_xor_b32_e32 v11, 2, v3
	v_xor_b32_e32 v14, 1, v3
	v_add_nc_u32_e32 v4, 8, v4
	s_delay_alu instid0(VALU_DEP_1) | instskip(NEXT) | instid1(VALU_DEP_1)
	v_cmp_lt_i32_e64 s0, v8, v4
	v_cndmask_b32_e64 v8, v3, v8, s0
	v_cmp_lt_i32_e64 s0, v11, v4
	s_delay_alu instid0(VALU_DEP_2) | instskip(NEXT) | instid1(VALU_DEP_2)
	v_lshlrev_b32_e32 v8, 2, v8
	v_cndmask_b32_e64 v11, v3, v11, s0
	s_waitcnt lgkmcnt(0)
	ds_bpermute_b32 v9, v8, v1
	ds_bpermute_b32 v10, v8, v2
	v_lshlrev_b32_e32 v11, 2, v11
	s_waitcnt lgkmcnt(1)
	v_cmp_lt_f32_e64 s0, v1, v9
	s_delay_alu instid0(VALU_DEP_1)
	v_cndmask_b32_e64 v9, v1, v9, s0
	s_waitcnt lgkmcnt(0)
	v_cmp_lt_f32_e64 s0, v2, v10
	ds_bpermute_b32 v12, v11, v9
	v_cndmask_b32_e64 v10, v2, v10, s0
	v_cmp_lt_i32_e64 s0, v14, v4
	ds_bpermute_b32 v13, v11, v10
	v_cndmask_b32_e64 v3, v3, v14, s0
	s_delay_alu instid0(VALU_DEP_1) | instskip(SKIP_2) | instid1(VALU_DEP_1)
	v_lshlrev_b32_e32 v14, 2, v3
	s_waitcnt lgkmcnt(1)
	v_cmp_lt_f32_e64 s0, v9, v12
	v_cndmask_b32_e64 v3, v9, v12, s0
	s_waitcnt lgkmcnt(0)
	v_cmp_lt_f32_e64 s0, v10, v13
	ds_bpermute_b32 v4, v14, v3
	v_cndmask_b32_e64 v9, v10, v13, s0
	s_waitcnt lgkmcnt(0)
	v_cmp_lt_f32_e64 s0, v3, v4
	s_delay_alu instid0(VALU_DEP_1) | instskip(NEXT) | instid1(VALU_DEP_1)
	v_cndmask_b32_e64 v4, v3, v4, s0
	v_sub_f32_e32 v1, v1, v4
	ds_bpermute_b32 v10, v14, v9
	s_waitcnt lgkmcnt(0)
	v_cmp_lt_f32_e64 s0, v9, v10
	s_delay_alu instid0(VALU_DEP_1) | instskip(SKIP_2) | instid1(VALU_DEP_2)
	v_cndmask_b32_e64 v3, v9, v10, s0
	v_mul_f32_e32 v9, 0x3fb8aa3b, v1
	v_cmp_ngt_f32_e64 s0, 0xc2ce8ed0, v1
	v_fma_f32 v12, 0x3fb8aa3b, v1, -v9
	v_rndne_f32_e32 v13, v9
	s_delay_alu instid0(VALU_DEP_2) | instskip(NEXT) | instid1(VALU_DEP_2)
	v_fmac_f32_e32 v12, 0x32a5705f, v1
	v_dual_sub_f32 v9, v9, v13 :: v_dual_sub_f32 v2, v2, v3
	s_delay_alu instid0(VALU_DEP_1) | instskip(SKIP_1) | instid1(VALU_DEP_2)
	v_dual_add_f32 v9, v9, v12 :: v_dual_mul_f32 v10, 0x3fb8aa3b, v2
	v_cvt_i32_f32_e32 v12, v13
	v_exp_f32_e32 v9, v9
	s_delay_alu instid0(VALU_DEP_2) | instskip(SKIP_1) | instid1(VALU_DEP_1)
	v_fma_f32 v15, 0x3fb8aa3b, v2, -v10
	v_rndne_f32_e32 v16, v10
	v_dual_fmac_f32 v15, 0x32a5705f, v2 :: v_dual_sub_f32 v10, v10, v16
	v_cvt_i32_f32_e32 v13, v16
	s_waitcnt_depctr 0xfff
	v_ldexp_f32 v9, v9, v12
	v_add_f32_e32 v10, v10, v15
	s_delay_alu instid0(VALU_DEP_2) | instskip(SKIP_1) | instid1(VALU_DEP_3)
	v_cndmask_b32_e64 v9, 0, v9, s0
	v_cmp_ngt_f32_e64 s0, 0xc2ce8ed0, v2
	v_exp_f32_e32 v10, v10
	s_waitcnt_depctr 0xfff
	v_ldexp_f32 v10, v10, v13
	s_delay_alu instid0(VALU_DEP_1) | instskip(SKIP_1) | instid1(VALU_DEP_1)
	v_cndmask_b32_e64 v10, 0, v10, s0
	v_cmp_nlt_f32_e64 s0, 0x42b17218, v1
	v_cndmask_b32_e64 v1, 0x7f800000, v9, s0
	v_cmp_nlt_f32_e64 s0, 0x42b17218, v2
	ds_bpermute_b32 v9, v8, v1
	v_cndmask_b32_e64 v2, 0x7f800000, v10, s0
	ds_bpermute_b32 v8, v8, v2
	ds_store_2addr_b32 v6, v1, v2 offset1:1
	s_waitcnt lgkmcnt(1)
	v_dual_add_f32 v9, v1, v9 :: v_dual_add_f32 v10, v2, v8
	ds_bpermute_b32 v8, v11, v9
	ds_bpermute_b32 v11, v11, v10
	s_waitcnt lgkmcnt(0)
	v_dual_add_f32 v8, v9, v8 :: v_dual_add_f32 v9, v10, v11
	ds_bpermute_b32 v10, v14, v8
	ds_bpermute_b32 v11, v14, v9
	s_and_saveexec_b32 s0, vcc_lo
	s_cbranch_execz .LBB14_21
; %bb.11:
	v_ashrrev_i32_e32 v1, 31, v0
	v_cmp_eq_f32_e32 vcc_lo, 0xc61c4000, v4
	s_waitcnt lgkmcnt(1)
	v_add_f32_e32 v4, v8, v10
	s_waitcnt lgkmcnt(0)
	v_add_f32_e32 v8, v9, v11
	v_cmp_gt_i32_e64 s0, s6, v7
	v_lshlrev_b64 v[0:1], 1, v[0:1]
	v_cndmask_b32_e64 v2, 1.0, 0, vcc_lo
	v_cmp_eq_f32_e32 vcc_lo, 0xc61c4000, v3
	s_ashr_i32 s7, s6, 31
	s_mov_b64 s[4:5], 0
	s_lshl_b64 s[2:3], s[6:7], 1
	v_cndmask_b32_e64 v3, 1.0, 0, vcc_lo
	v_add_co_u32 v0, vcc_lo, s8, v0
	v_add_co_ci_u32_e32 v1, vcc_lo, s9, v1, vcc_lo
	s_branch .LBB14_15
.LBB14_12:                              ;   in Loop: Header=BB14_15 Depth=1
	s_or_b32 exec_lo, exec_lo, s7
	s_delay_alu instid0(VALU_DEP_1)
	v_lshrrev_b32_e32 v7, 16, v9
.LBB14_13:                              ;   in Loop: Header=BB14_15 Depth=1
	s_or_b32 exec_lo, exec_lo, s6
	global_store_b16 v[0:1], v7, off
.LBB14_14:                              ;   in Loop: Header=BB14_15 Depth=1
	s_or_b32 exec_lo, exec_lo, s1
	s_add_u32 s4, s4, 1
	v_add_co_u32 v0, s1, v0, s2
	v_cmp_eq_u32_e32 vcc_lo, s4, v5
	v_add_co_ci_u32_e64 v1, s1, s3, v1, s1
	v_add_nc_u32_e32 v6, 4, v6
	s_addc_u32 s5, s5, 0
	s_or_b32 s10, vcc_lo, s10
	s_delay_alu instid0(SALU_CYCLE_1)
	s_and_not1_b32 exec_lo, exec_lo, s10
	s_cbranch_execz .LBB14_21
.LBB14_15:                              ; =>This Inner Loop Header: Depth=1
	s_and_saveexec_b32 s1, s0
	s_cbranch_execz .LBB14_14
; %bb.16:                               ;   in Loop: Header=BB14_15 Depth=1
	s_cmp_eq_u32 s4, 1
	s_cselect_b32 vcc_lo, -1, 0
	v_cndmask_b32_e32 v7, v2, v3, vcc_lo
	s_delay_alu instid0(VALU_DEP_1)
	v_cmp_neq_f32_e32 vcc_lo, 0, v7
	v_mov_b32_e32 v7, 0
	s_and_saveexec_b32 s6, vcc_lo
	s_cbranch_execz .LBB14_13
; %bb.17:                               ;   in Loop: Header=BB14_15 Depth=1
	ds_load_b32 v7, v6
	s_cmp_eq_u32 s4, 1
	s_cselect_b32 vcc_lo, -1, 0
	v_cndmask_b32_e32 v9, v4, v8, vcc_lo
	s_waitcnt lgkmcnt(0)
	s_delay_alu instid0(VALU_DEP_1) | instskip(NEXT) | instid1(VALU_DEP_1)
	v_div_scale_f32 v10, null, v9, v9, v7
	v_rcp_f32_e32 v11, v10
	s_waitcnt_depctr 0xfff
	v_fma_f32 v12, -v10, v11, 1.0
	s_delay_alu instid0(VALU_DEP_1) | instskip(SKIP_1) | instid1(VALU_DEP_1)
	v_fmac_f32_e32 v11, v12, v11
	v_div_scale_f32 v12, vcc_lo, v7, v9, v7
	v_mul_f32_e32 v13, v12, v11
	s_delay_alu instid0(VALU_DEP_1) | instskip(NEXT) | instid1(VALU_DEP_1)
	v_fma_f32 v14, -v10, v13, v12
	v_fmac_f32_e32 v13, v14, v11
	s_delay_alu instid0(VALU_DEP_1) | instskip(NEXT) | instid1(VALU_DEP_1)
	v_fma_f32 v10, -v10, v13, v12
	v_div_fmas_f32 v10, v10, v11, v13
	s_delay_alu instid0(VALU_DEP_1) | instskip(NEXT) | instid1(VALU_DEP_1)
	v_div_fixup_f32 v7, v10, v9, v7
	v_and_b32_e32 v9, 0x7f800000, v7
	s_delay_alu instid0(VALU_DEP_1) | instskip(SKIP_1) | instid1(SALU_CYCLE_1)
	v_cmp_ne_u32_e32 vcc_lo, 0x7f800000, v9
                                        ; implicit-def: $vgpr9
	s_and_saveexec_b32 s7, vcc_lo
	s_xor_b32 s7, exec_lo, s7
; %bb.18:                               ;   in Loop: Header=BB14_15 Depth=1
	v_bfe_u32 v9, v7, 16, 1
	s_delay_alu instid0(VALU_DEP_1)
	v_add3_u32 v9, v7, v9, 0x7fff
                                        ; implicit-def: $vgpr7
; %bb.19:                               ;   in Loop: Header=BB14_15 Depth=1
	s_and_not1_saveexec_b32 s7, s7
	s_cbranch_execz .LBB14_12
; %bb.20:                               ;   in Loop: Header=BB14_15 Depth=1
	v_and_b32_e32 v9, 0xffff, v7
	v_or_b32_e32 v10, 0x10000, v7
	s_delay_alu instid0(VALU_DEP_2) | instskip(NEXT) | instid1(VALU_DEP_2)
	v_cmp_eq_u32_e32 vcc_lo, 0, v9
	v_cndmask_b32_e32 v9, v10, v7, vcc_lo
	s_branch .LBB14_12
.LBB14_21:
	s_nop 0
	s_sendmsg sendmsg(MSG_DEALLOC_VGPRS)
	s_endpgm
	.section	.rodata,"a",@progbits
	.p2align	6, 0x0
	.amdhsa_kernel _Z34scaled_masked_softmax_warp_forwardI14__hip_bfloat16S0_fLi3EEvPT0_PKT_PKhT1_iii
		.amdhsa_group_segment_fixed_size 8192
		.amdhsa_private_segment_fixed_size 0
		.amdhsa_kernarg_size 296
		.amdhsa_user_sgpr_count 13
		.amdhsa_user_sgpr_dispatch_ptr 1
		.amdhsa_user_sgpr_queue_ptr 0
		.amdhsa_user_sgpr_kernarg_segment_ptr 1
		.amdhsa_user_sgpr_dispatch_id 0
		.amdhsa_user_sgpr_private_segment_size 0
		.amdhsa_wavefront_size32 1
		.amdhsa_uses_dynamic_stack 0
		.amdhsa_enable_private_segment 0
		.amdhsa_system_sgpr_workgroup_id_x 1
		.amdhsa_system_sgpr_workgroup_id_y 1
		.amdhsa_system_sgpr_workgroup_id_z 1
		.amdhsa_system_sgpr_workgroup_info 0
		.amdhsa_system_vgpr_workitem_id 2
		.amdhsa_next_free_vgpr 17
		.amdhsa_next_free_sgpr 18
		.amdhsa_reserve_vcc 1
		.amdhsa_float_round_mode_32 0
		.amdhsa_float_round_mode_16_64 0
		.amdhsa_float_denorm_mode_32 3
		.amdhsa_float_denorm_mode_16_64 3
		.amdhsa_dx10_clamp 1
		.amdhsa_ieee_mode 1
		.amdhsa_fp16_overflow 0
		.amdhsa_workgroup_processor_mode 1
		.amdhsa_memory_ordered 1
		.amdhsa_forward_progress 0
		.amdhsa_shared_vgpr_count 0
		.amdhsa_exception_fp_ieee_invalid_op 0
		.amdhsa_exception_fp_denorm_src 0
		.amdhsa_exception_fp_ieee_div_zero 0
		.amdhsa_exception_fp_ieee_overflow 0
		.amdhsa_exception_fp_ieee_underflow 0
		.amdhsa_exception_fp_ieee_inexact 0
		.amdhsa_exception_int_div_zero 0
	.end_amdhsa_kernel
	.section	.text._Z34scaled_masked_softmax_warp_forwardI14__hip_bfloat16S0_fLi3EEvPT0_PKT_PKhT1_iii,"axG",@progbits,_Z34scaled_masked_softmax_warp_forwardI14__hip_bfloat16S0_fLi3EEvPT0_PKT_PKhT1_iii,comdat
.Lfunc_end14:
	.size	_Z34scaled_masked_softmax_warp_forwardI14__hip_bfloat16S0_fLi3EEvPT0_PKT_PKhT1_iii, .Lfunc_end14-_Z34scaled_masked_softmax_warp_forwardI14__hip_bfloat16S0_fLi3EEvPT0_PKT_PKhT1_iii
                                        ; -- End function
	.section	.AMDGPU.csdata,"",@progbits
; Kernel info:
; codeLenInByte = 1608
; NumSgprs: 20
; NumVgprs: 17
; ScratchSize: 0
; MemoryBound: 0
; FloatMode: 240
; IeeeMode: 1
; LDSByteSize: 8192 bytes/workgroup (compile time only)
; SGPRBlocks: 2
; VGPRBlocks: 2
; NumSGPRsForWavesPerEU: 20
; NumVGPRsForWavesPerEU: 17
; Occupancy: 16
; WaveLimiterHint : 0
; COMPUTE_PGM_RSRC2:SCRATCH_EN: 0
; COMPUTE_PGM_RSRC2:USER_SGPR: 13
; COMPUTE_PGM_RSRC2:TRAP_HANDLER: 0
; COMPUTE_PGM_RSRC2:TGID_X_EN: 1
; COMPUTE_PGM_RSRC2:TGID_Y_EN: 1
; COMPUTE_PGM_RSRC2:TGID_Z_EN: 1
; COMPUTE_PGM_RSRC2:TIDIG_COMP_CNT: 2
	.section	.text._Z34scaled_masked_softmax_warp_forwardI14__hip_bfloat16S0_fLi4EEvPT0_PKT_PKhT1_iii,"axG",@progbits,_Z34scaled_masked_softmax_warp_forwardI14__hip_bfloat16S0_fLi4EEvPT0_PKT_PKhT1_iii,comdat
	.protected	_Z34scaled_masked_softmax_warp_forwardI14__hip_bfloat16S0_fLi4EEvPT0_PKT_PKhT1_iii ; -- Begin function _Z34scaled_masked_softmax_warp_forwardI14__hip_bfloat16S0_fLi4EEvPT0_PKT_PKhT1_iii
	.globl	_Z34scaled_masked_softmax_warp_forwardI14__hip_bfloat16S0_fLi4EEvPT0_PKT_PKhT1_iii
	.p2align	8
	.type	_Z34scaled_masked_softmax_warp_forwardI14__hip_bfloat16S0_fLi4EEvPT0_PKT_PKhT1_iii,@function
_Z34scaled_masked_softmax_warp_forwardI14__hip_bfloat16S0_fLi4EEvPT0_PKT_PKhT1_iii: ; @_Z34scaled_masked_softmax_warp_forwardI14__hip_bfloat16S0_fLi4EEvPT0_PKT_PKhT1_iii
; %bb.0:
	s_clause 0x2
	s_load_b32 s10, s[2:3], 0x34
	s_load_b128 s[4:7], s[2:3], 0x18
	s_load_b64 s[8:9], s[2:3], 0x28
	s_waitcnt lgkmcnt(0)
	s_lshr_b32 s10, s10, 16
	s_cmp_eq_u32 s7, 1
	s_mov_b32 s7, s13
	s_cbranch_scc1 .LBB15_2
; %bb.1:
	s_mul_i32 s7, s8, s15
	s_delay_alu instid0(SALU_CYCLE_1)
	s_add_i32 s7, s7, s13
.LBB15_2:
	s_load_b64 s[16:17], s[0:1], 0x4
	s_mul_i32 s0, s9, s15
	v_bfe_u32 v2, v0, 10, 10
	s_add_i32 s0, s0, s14
	v_and_b32_e32 v7, 0x3ff, v0
	s_mul_i32 s1, s8, s0
	s_and_b32 s0, 0xffff, s10
	s_add_i32 s1, s1, s13
	s_clause 0x1
	s_load_b128 s[8:11], s[2:3], 0x0
	s_load_b64 s[2:3], s[2:3], 0x10
	v_mad_u64_u32 v[3:4], null, s1, s0, v[2:3]
	v_bfe_u32 v0, v0, 20, 10
	s_mov_b32 s12, 0
	s_delay_alu instid0(VALU_DEP_2) | instskip(SKIP_3) | instid1(VALU_DEP_2)
	v_lshlrev_b32_e32 v1, 1, v3
	v_mul_lo_u32 v3, s6, v3
	s_waitcnt lgkmcnt(0)
	s_lshr_b32 s1, s16, 16
	v_sub_nc_u32_e32 v1, s5, v1
	s_mul_i32 s1, s1, s17
	s_delay_alu instid0(SALU_CYCLE_1) | instskip(NEXT) | instid1(VALU_DEP_2)
	v_mul_lo_u32 v4, s1, v7
	v_min_i32_e32 v5, 2, v1
	v_cmp_lt_i32_e32 vcc_lo, 0, v1
                                        ; implicit-def: $vgpr1
	s_delay_alu instid0(VALU_DEP_2) | instskip(NEXT) | instid1(VALU_DEP_4)
	v_max_i32_e32 v5, 1, v5
	v_mad_u32_u24 v4, v2, s17, v4
	s_delay_alu instid0(VALU_DEP_1)
	v_add_lshl_u32 v6, v4, v0, 3
	v_lshl_add_u32 v0, v3, 1, v7
	s_and_saveexec_b32 s5, vcc_lo
	s_cbranch_execz .LBB15_10
; %bb.3:
	v_mad_u64_u32 v[3:4], null, s7, s0, v[2:3]
	s_delay_alu instid0(VALU_DEP_2) | instskip(SKIP_3) | instid1(VALU_DEP_4)
	v_ashrrev_i32_e32 v1, 31, v0
	v_cmp_gt_i32_e64 s0, s6, v7
	v_dual_mov_b32 v8, v5 :: v_dual_mov_b32 v9, v6
	s_ashr_i32 s7, s6, 31
	v_mul_lo_u32 v2, s6, v3
	s_delay_alu instid0(VALU_DEP_1) | instskip(SKIP_1) | instid1(VALU_DEP_2)
	v_lshl_add_u32 v3, v2, 1, v7
	v_lshlrev_b64 v[1:2], 1, v[0:1]
	v_ashrrev_i32_e32 v4, 31, v3
	s_delay_alu instid0(VALU_DEP_2) | instskip(NEXT) | instid1(VALU_DEP_1)
	v_add_co_u32 v1, s1, s10, v1
	v_add_co_ci_u32_e64 v2, s1, s11, v2, s1
	v_add_co_u32 v3, s1, s2, v3
	s_delay_alu instid0(VALU_DEP_1)
	v_add_co_ci_u32_e64 v4, s1, s3, v4, s1
	s_lshl_b64 s[10:11], s[6:7], 1
	s_set_inst_prefetch_distance 0x1
	s_branch .LBB15_6
	.p2align	6
.LBB15_4:                               ;   in Loop: Header=BB15_6 Depth=1
	s_or_b32 exec_lo, exec_lo, s3
.LBB15_5:                               ;   in Loop: Header=BB15_6 Depth=1
	s_delay_alu instid0(SALU_CYCLE_1) | instskip(SKIP_2) | instid1(VALU_DEP_1)
	s_or_b32 exec_lo, exec_lo, s2
	v_add_nc_u32_e32 v8, -1, v8
	v_add_co_u32 v1, s1, v1, s10
	v_add_co_ci_u32_e64 v2, s1, s11, v2, s1
	s_delay_alu instid0(VALU_DEP_3)
	v_cmp_eq_u32_e64 s1, 0, v8
	v_add_co_u32 v3, s2, v3, s6
	ds_store_b32 v9, v10
	v_add_nc_u32_e32 v9, 4, v9
	v_add_co_ci_u32_e64 v4, s2, s7, v4, s2
	s_or_b32 s12, s1, s12
	s_delay_alu instid0(SALU_CYCLE_1)
	s_and_not1_b32 exec_lo, exec_lo, s12
	s_cbranch_execz .LBB15_9
.LBB15_6:                               ; =>This Inner Loop Header: Depth=1
	v_mov_b32_e32 v10, 0xff800000
	s_and_saveexec_b32 s2, s0
	s_cbranch_execz .LBB15_5
; %bb.7:                                ;   in Loop: Header=BB15_6 Depth=1
	global_load_u8 v10, v[3:4], off
	s_waitcnt vmcnt(0)
	v_cmp_ne_u16_e64 s1, 1, v10
	v_mov_b32_e32 v10, 0xc61c4000
	s_delay_alu instid0(VALU_DEP_2)
	s_and_saveexec_b32 s3, s1
	s_cbranch_execz .LBB15_4
; %bb.8:                                ;   in Loop: Header=BB15_6 Depth=1
	global_load_u16 v10, v[1:2], off
	s_waitcnt vmcnt(0)
	v_lshlrev_b32_e32 v10, 16, v10
	s_delay_alu instid0(VALU_DEP_1)
	v_mul_f32_e32 v10, s4, v10
	s_branch .LBB15_4
.LBB15_9:
	s_set_inst_prefetch_distance 0x2
	s_or_b32 exec_lo, exec_lo, s12
	ds_load_2addr_b32 v[1:2], v6 offset1:1
.LBB15_10:
	s_or_b32 exec_lo, exec_lo, s5
	v_mbcnt_lo_u32_b32 v3, -1, 0
	s_mov_b32 s10, 0
	s_delay_alu instid0(VALU_DEP_1)
	v_and_b32_e32 v4, 16, v3
	v_xor_b32_e32 v8, 8, v3
	v_xor_b32_e32 v11, 4, v3
	;; [unrolled: 1-line block ×4, first 2 shown]
	v_add_nc_u32_e32 v4, 16, v4
	s_delay_alu instid0(VALU_DEP_1) | instskip(NEXT) | instid1(VALU_DEP_1)
	v_cmp_lt_i32_e64 s0, v8, v4
	v_cndmask_b32_e64 v8, v3, v8, s0
	v_cmp_lt_i32_e64 s0, v11, v4
	s_delay_alu instid0(VALU_DEP_2) | instskip(NEXT) | instid1(VALU_DEP_2)
	v_lshlrev_b32_e32 v8, 2, v8
	v_cndmask_b32_e64 v11, v3, v11, s0
	s_waitcnt lgkmcnt(0)
	ds_bpermute_b32 v9, v8, v1
	ds_bpermute_b32 v10, v8, v2
	v_lshlrev_b32_e32 v11, 2, v11
	s_waitcnt lgkmcnt(1)
	v_cmp_lt_f32_e64 s0, v1, v9
	s_delay_alu instid0(VALU_DEP_1)
	v_cndmask_b32_e64 v9, v1, v9, s0
	s_waitcnt lgkmcnt(0)
	v_cmp_lt_f32_e64 s0, v2, v10
	ds_bpermute_b32 v12, v11, v9
	v_cndmask_b32_e64 v10, v2, v10, s0
	v_cmp_lt_i32_e64 s0, v14, v4
	ds_bpermute_b32 v13, v11, v10
	v_cndmask_b32_e64 v14, v3, v14, s0
	s_delay_alu instid0(VALU_DEP_1) | instskip(SKIP_2) | instid1(VALU_DEP_1)
	v_lshlrev_b32_e32 v14, 2, v14
	s_waitcnt lgkmcnt(1)
	v_cmp_lt_f32_e64 s0, v9, v12
	v_cndmask_b32_e64 v9, v9, v12, s0
	s_waitcnt lgkmcnt(0)
	v_cmp_lt_f32_e64 s0, v10, v13
	ds_bpermute_b32 v12, v14, v9
	v_cndmask_b32_e64 v10, v10, v13, s0
	v_cmp_lt_i32_e64 s0, v15, v4
	ds_bpermute_b32 v13, v14, v10
	v_cndmask_b32_e64 v3, v3, v15, s0
	s_delay_alu instid0(VALU_DEP_1) | instskip(SKIP_2) | instid1(VALU_DEP_1)
	v_lshlrev_b32_e32 v15, 2, v3
	s_waitcnt lgkmcnt(1)
	v_cmp_lt_f32_e64 s0, v9, v12
	v_cndmask_b32_e64 v3, v9, v12, s0
	s_waitcnt lgkmcnt(0)
	v_cmp_lt_f32_e64 s0, v10, v13
	ds_bpermute_b32 v4, v15, v3
	v_cndmask_b32_e64 v9, v10, v13, s0
	ds_bpermute_b32 v10, v15, v9
	s_waitcnt lgkmcnt(1)
	v_cmp_lt_f32_e64 s0, v3, v4
	s_delay_alu instid0(VALU_DEP_1) | instskip(SKIP_2) | instid1(VALU_DEP_2)
	v_cndmask_b32_e64 v4, v3, v4, s0
	s_waitcnt lgkmcnt(0)
	v_cmp_lt_f32_e64 s0, v9, v10
	v_sub_f32_e32 v1, v1, v4
	s_delay_alu instid0(VALU_DEP_2) | instskip(NEXT) | instid1(VALU_DEP_2)
	v_cndmask_b32_e64 v3, v9, v10, s0
	v_mul_f32_e32 v9, 0x3fb8aa3b, v1
	v_cmp_ngt_f32_e64 s0, 0xc2ce8ed0, v1
	s_delay_alu instid0(VALU_DEP_2) | instskip(SKIP_1) | instid1(VALU_DEP_2)
	v_fma_f32 v12, 0x3fb8aa3b, v1, -v9
	v_rndne_f32_e32 v13, v9
	v_fmac_f32_e32 v12, 0x32a5705f, v1
	s_delay_alu instid0(VALU_DEP_2) | instskip(NEXT) | instid1(VALU_DEP_1)
	v_dual_sub_f32 v9, v9, v13 :: v_dual_sub_f32 v2, v2, v3
	v_dual_add_f32 v9, v9, v12 :: v_dual_mul_f32 v10, 0x3fb8aa3b, v2
	v_cvt_i32_f32_e32 v12, v13
	s_delay_alu instid0(VALU_DEP_2) | instskip(NEXT) | instid1(VALU_DEP_2)
	v_exp_f32_e32 v9, v9
	v_fma_f32 v16, 0x3fb8aa3b, v2, -v10
	v_rndne_f32_e32 v17, v10
	s_delay_alu instid0(VALU_DEP_2) | instskip(NEXT) | instid1(VALU_DEP_2)
	v_fmac_f32_e32 v16, 0x32a5705f, v2
	v_sub_f32_e32 v10, v10, v17
	v_cvt_i32_f32_e32 v13, v17
	s_waitcnt_depctr 0xfff
	v_ldexp_f32 v9, v9, v12
	v_add_f32_e32 v10, v10, v16
	s_delay_alu instid0(VALU_DEP_2) | instskip(SKIP_1) | instid1(VALU_DEP_3)
	v_cndmask_b32_e64 v9, 0, v9, s0
	v_cmp_ngt_f32_e64 s0, 0xc2ce8ed0, v2
	v_exp_f32_e32 v10, v10
	s_waitcnt_depctr 0xfff
	v_ldexp_f32 v10, v10, v13
	s_delay_alu instid0(VALU_DEP_1) | instskip(SKIP_1) | instid1(VALU_DEP_1)
	v_cndmask_b32_e64 v10, 0, v10, s0
	v_cmp_nlt_f32_e64 s0, 0x42b17218, v1
	v_cndmask_b32_e64 v1, 0x7f800000, v9, s0
	v_cmp_nlt_f32_e64 s0, 0x42b17218, v2
	ds_bpermute_b32 v9, v8, v1
	v_cndmask_b32_e64 v2, 0x7f800000, v10, s0
	ds_store_2addr_b32 v6, v1, v2 offset1:1
	s_waitcnt lgkmcnt(1)
	v_add_f32_e32 v9, v1, v9
	ds_bpermute_b32 v8, v8, v2
	ds_bpermute_b32 v10, v11, v9
	s_waitcnt lgkmcnt(0)
	v_dual_add_f32 v8, v2, v8 :: v_dual_add_f32 v9, v9, v10
	ds_bpermute_b32 v11, v11, v8
	s_waitcnt lgkmcnt(0)
	v_add_f32_e32 v10, v8, v11
	ds_bpermute_b32 v8, v14, v9
	ds_bpermute_b32 v11, v14, v10
	s_waitcnt lgkmcnt(0)
	v_dual_add_f32 v8, v9, v8 :: v_dual_add_f32 v9, v10, v11
	ds_bpermute_b32 v10, v15, v8
	ds_bpermute_b32 v11, v15, v9
	s_and_saveexec_b32 s0, vcc_lo
	s_cbranch_execz .LBB15_21
; %bb.11:
	v_ashrrev_i32_e32 v1, 31, v0
	v_cmp_eq_f32_e32 vcc_lo, 0xc61c4000, v4
	s_waitcnt lgkmcnt(1)
	v_add_f32_e32 v4, v8, v10
	s_waitcnt lgkmcnt(0)
	v_add_f32_e32 v8, v9, v11
	v_cmp_gt_i32_e64 s0, s6, v7
	v_lshlrev_b64 v[0:1], 1, v[0:1]
	v_cndmask_b32_e64 v2, 1.0, 0, vcc_lo
	v_cmp_eq_f32_e32 vcc_lo, 0xc61c4000, v3
	s_ashr_i32 s7, s6, 31
	s_mov_b64 s[4:5], 0
	s_lshl_b64 s[2:3], s[6:7], 1
	v_cndmask_b32_e64 v3, 1.0, 0, vcc_lo
	v_add_co_u32 v0, vcc_lo, s8, v0
	v_add_co_ci_u32_e32 v1, vcc_lo, s9, v1, vcc_lo
	s_branch .LBB15_15
.LBB15_12:                              ;   in Loop: Header=BB15_15 Depth=1
	s_or_b32 exec_lo, exec_lo, s7
	s_delay_alu instid0(VALU_DEP_1)
	v_lshrrev_b32_e32 v7, 16, v9
.LBB15_13:                              ;   in Loop: Header=BB15_15 Depth=1
	s_or_b32 exec_lo, exec_lo, s6
	global_store_b16 v[0:1], v7, off
.LBB15_14:                              ;   in Loop: Header=BB15_15 Depth=1
	s_or_b32 exec_lo, exec_lo, s1
	s_add_u32 s4, s4, 1
	v_add_co_u32 v0, s1, v0, s2
	v_cmp_eq_u32_e32 vcc_lo, s4, v5
	v_add_co_ci_u32_e64 v1, s1, s3, v1, s1
	v_add_nc_u32_e32 v6, 4, v6
	s_addc_u32 s5, s5, 0
	s_or_b32 s10, vcc_lo, s10
	s_delay_alu instid0(SALU_CYCLE_1)
	s_and_not1_b32 exec_lo, exec_lo, s10
	s_cbranch_execz .LBB15_21
.LBB15_15:                              ; =>This Inner Loop Header: Depth=1
	s_and_saveexec_b32 s1, s0
	s_cbranch_execz .LBB15_14
; %bb.16:                               ;   in Loop: Header=BB15_15 Depth=1
	s_cmp_eq_u32 s4, 1
	s_cselect_b32 vcc_lo, -1, 0
	v_cndmask_b32_e32 v7, v2, v3, vcc_lo
	s_delay_alu instid0(VALU_DEP_1)
	v_cmp_neq_f32_e32 vcc_lo, 0, v7
	v_mov_b32_e32 v7, 0
	s_and_saveexec_b32 s6, vcc_lo
	s_cbranch_execz .LBB15_13
; %bb.17:                               ;   in Loop: Header=BB15_15 Depth=1
	ds_load_b32 v7, v6
	s_cmp_eq_u32 s4, 1
	s_cselect_b32 vcc_lo, -1, 0
	v_cndmask_b32_e32 v9, v4, v8, vcc_lo
	s_waitcnt lgkmcnt(0)
	s_delay_alu instid0(VALU_DEP_1) | instskip(NEXT) | instid1(VALU_DEP_1)
	v_div_scale_f32 v10, null, v9, v9, v7
	v_rcp_f32_e32 v11, v10
	s_waitcnt_depctr 0xfff
	v_fma_f32 v12, -v10, v11, 1.0
	s_delay_alu instid0(VALU_DEP_1) | instskip(SKIP_1) | instid1(VALU_DEP_1)
	v_fmac_f32_e32 v11, v12, v11
	v_div_scale_f32 v12, vcc_lo, v7, v9, v7
	v_mul_f32_e32 v13, v12, v11
	s_delay_alu instid0(VALU_DEP_1) | instskip(NEXT) | instid1(VALU_DEP_1)
	v_fma_f32 v14, -v10, v13, v12
	v_fmac_f32_e32 v13, v14, v11
	s_delay_alu instid0(VALU_DEP_1) | instskip(NEXT) | instid1(VALU_DEP_1)
	v_fma_f32 v10, -v10, v13, v12
	v_div_fmas_f32 v10, v10, v11, v13
	s_delay_alu instid0(VALU_DEP_1) | instskip(NEXT) | instid1(VALU_DEP_1)
	v_div_fixup_f32 v7, v10, v9, v7
	v_and_b32_e32 v9, 0x7f800000, v7
	s_delay_alu instid0(VALU_DEP_1) | instskip(SKIP_1) | instid1(SALU_CYCLE_1)
	v_cmp_ne_u32_e32 vcc_lo, 0x7f800000, v9
                                        ; implicit-def: $vgpr9
	s_and_saveexec_b32 s7, vcc_lo
	s_xor_b32 s7, exec_lo, s7
; %bb.18:                               ;   in Loop: Header=BB15_15 Depth=1
	v_bfe_u32 v9, v7, 16, 1
	s_delay_alu instid0(VALU_DEP_1)
	v_add3_u32 v9, v7, v9, 0x7fff
                                        ; implicit-def: $vgpr7
; %bb.19:                               ;   in Loop: Header=BB15_15 Depth=1
	s_and_not1_saveexec_b32 s7, s7
	s_cbranch_execz .LBB15_12
; %bb.20:                               ;   in Loop: Header=BB15_15 Depth=1
	v_and_b32_e32 v9, 0xffff, v7
	v_or_b32_e32 v10, 0x10000, v7
	s_delay_alu instid0(VALU_DEP_2) | instskip(NEXT) | instid1(VALU_DEP_2)
	v_cmp_eq_u32_e32 vcc_lo, 0, v9
	v_cndmask_b32_e32 v9, v10, v7, vcc_lo
	s_branch .LBB15_12
.LBB15_21:
	s_nop 0
	s_sendmsg sendmsg(MSG_DEALLOC_VGPRS)
	s_endpgm
	.section	.rodata,"a",@progbits
	.p2align	6, 0x0
	.amdhsa_kernel _Z34scaled_masked_softmax_warp_forwardI14__hip_bfloat16S0_fLi4EEvPT0_PKT_PKhT1_iii
		.amdhsa_group_segment_fixed_size 8192
		.amdhsa_private_segment_fixed_size 0
		.amdhsa_kernarg_size 296
		.amdhsa_user_sgpr_count 13
		.amdhsa_user_sgpr_dispatch_ptr 1
		.amdhsa_user_sgpr_queue_ptr 0
		.amdhsa_user_sgpr_kernarg_segment_ptr 1
		.amdhsa_user_sgpr_dispatch_id 0
		.amdhsa_user_sgpr_private_segment_size 0
		.amdhsa_wavefront_size32 1
		.amdhsa_uses_dynamic_stack 0
		.amdhsa_enable_private_segment 0
		.amdhsa_system_sgpr_workgroup_id_x 1
		.amdhsa_system_sgpr_workgroup_id_y 1
		.amdhsa_system_sgpr_workgroup_id_z 1
		.amdhsa_system_sgpr_workgroup_info 0
		.amdhsa_system_vgpr_workitem_id 2
		.amdhsa_next_free_vgpr 18
		.amdhsa_next_free_sgpr 18
		.amdhsa_reserve_vcc 1
		.amdhsa_float_round_mode_32 0
		.amdhsa_float_round_mode_16_64 0
		.amdhsa_float_denorm_mode_32 3
		.amdhsa_float_denorm_mode_16_64 3
		.amdhsa_dx10_clamp 1
		.amdhsa_ieee_mode 1
		.amdhsa_fp16_overflow 0
		.amdhsa_workgroup_processor_mode 1
		.amdhsa_memory_ordered 1
		.amdhsa_forward_progress 0
		.amdhsa_shared_vgpr_count 0
		.amdhsa_exception_fp_ieee_invalid_op 0
		.amdhsa_exception_fp_denorm_src 0
		.amdhsa_exception_fp_ieee_div_zero 0
		.amdhsa_exception_fp_ieee_overflow 0
		.amdhsa_exception_fp_ieee_underflow 0
		.amdhsa_exception_fp_ieee_inexact 0
		.amdhsa_exception_int_div_zero 0
	.end_amdhsa_kernel
	.section	.text._Z34scaled_masked_softmax_warp_forwardI14__hip_bfloat16S0_fLi4EEvPT0_PKT_PKhT1_iii,"axG",@progbits,_Z34scaled_masked_softmax_warp_forwardI14__hip_bfloat16S0_fLi4EEvPT0_PKT_PKhT1_iii,comdat
.Lfunc_end15:
	.size	_Z34scaled_masked_softmax_warp_forwardI14__hip_bfloat16S0_fLi4EEvPT0_PKT_PKhT1_iii, .Lfunc_end15-_Z34scaled_masked_softmax_warp_forwardI14__hip_bfloat16S0_fLi4EEvPT0_PKT_PKhT1_iii
                                        ; -- End function
	.section	.AMDGPU.csdata,"",@progbits
; Kernel info:
; codeLenInByte = 1728
; NumSgprs: 20
; NumVgprs: 18
; ScratchSize: 0
; MemoryBound: 0
; FloatMode: 240
; IeeeMode: 1
; LDSByteSize: 8192 bytes/workgroup (compile time only)
; SGPRBlocks: 2
; VGPRBlocks: 2
; NumSGPRsForWavesPerEU: 20
; NumVGPRsForWavesPerEU: 18
; Occupancy: 16
; WaveLimiterHint : 0
; COMPUTE_PGM_RSRC2:SCRATCH_EN: 0
; COMPUTE_PGM_RSRC2:USER_SGPR: 13
; COMPUTE_PGM_RSRC2:TRAP_HANDLER: 0
; COMPUTE_PGM_RSRC2:TGID_X_EN: 1
; COMPUTE_PGM_RSRC2:TGID_Y_EN: 1
; COMPUTE_PGM_RSRC2:TGID_Z_EN: 1
; COMPUTE_PGM_RSRC2:TIDIG_COMP_CNT: 2
	.section	.text._Z34scaled_masked_softmax_warp_forwardI14__hip_bfloat16S0_fLi5EEvPT0_PKT_PKhT1_iii,"axG",@progbits,_Z34scaled_masked_softmax_warp_forwardI14__hip_bfloat16S0_fLi5EEvPT0_PKT_PKhT1_iii,comdat
	.protected	_Z34scaled_masked_softmax_warp_forwardI14__hip_bfloat16S0_fLi5EEvPT0_PKT_PKhT1_iii ; -- Begin function _Z34scaled_masked_softmax_warp_forwardI14__hip_bfloat16S0_fLi5EEvPT0_PKT_PKhT1_iii
	.globl	_Z34scaled_masked_softmax_warp_forwardI14__hip_bfloat16S0_fLi5EEvPT0_PKT_PKhT1_iii
	.p2align	8
	.type	_Z34scaled_masked_softmax_warp_forwardI14__hip_bfloat16S0_fLi5EEvPT0_PKT_PKhT1_iii,@function
_Z34scaled_masked_softmax_warp_forwardI14__hip_bfloat16S0_fLi5EEvPT0_PKT_PKhT1_iii: ; @_Z34scaled_masked_softmax_warp_forwardI14__hip_bfloat16S0_fLi5EEvPT0_PKT_PKhT1_iii
; %bb.0:
	s_clause 0x2
	s_load_b32 s10, s[2:3], 0x34
	s_load_b128 s[4:7], s[2:3], 0x18
	s_load_b64 s[8:9], s[2:3], 0x28
	s_waitcnt lgkmcnt(0)
	s_lshr_b32 s10, s10, 16
	s_cmp_eq_u32 s7, 1
	s_mov_b32 s7, s13
	s_cbranch_scc1 .LBB16_2
; %bb.1:
	s_mul_i32 s7, s8, s15
	s_delay_alu instid0(SALU_CYCLE_1)
	s_add_i32 s7, s7, s13
.LBB16_2:
	s_load_b64 s[16:17], s[0:1], 0x4
	s_mul_i32 s0, s9, s15
	v_bfe_u32 v2, v0, 10, 10
	s_add_i32 s0, s0, s14
	v_and_b32_e32 v7, 0x3ff, v0
	s_mul_i32 s1, s8, s0
	s_and_b32 s0, 0xffff, s10
	s_add_i32 s1, s1, s13
	s_clause 0x1
	s_load_b128 s[8:11], s[2:3], 0x0
	s_load_b64 s[2:3], s[2:3], 0x10
	v_mad_u64_u32 v[3:4], null, s1, s0, v[2:3]
	v_bfe_u32 v0, v0, 20, 10
	s_mov_b32 s12, 0
	s_delay_alu instid0(VALU_DEP_2) | instskip(SKIP_3) | instid1(VALU_DEP_2)
	v_lshlrev_b32_e32 v1, 1, v3
	v_mul_lo_u32 v3, s6, v3
	s_waitcnt lgkmcnt(0)
	s_lshr_b32 s1, s16, 16
	v_sub_nc_u32_e32 v1, s5, v1
	s_mul_i32 s1, s1, s17
	s_delay_alu instid0(SALU_CYCLE_1) | instskip(NEXT) | instid1(VALU_DEP_2)
	v_mul_lo_u32 v4, s1, v7
	v_min_i32_e32 v5, 2, v1
	v_cmp_lt_i32_e32 vcc_lo, 0, v1
                                        ; implicit-def: $vgpr1
	s_delay_alu instid0(VALU_DEP_2) | instskip(NEXT) | instid1(VALU_DEP_4)
	v_max_i32_e32 v5, 1, v5
	v_mad_u32_u24 v4, v2, s17, v4
	s_delay_alu instid0(VALU_DEP_1)
	v_add_lshl_u32 v6, v4, v0, 3
	v_lshl_add_u32 v0, v3, 1, v7
	s_and_saveexec_b32 s5, vcc_lo
	s_cbranch_execz .LBB16_10
; %bb.3:
	v_mad_u64_u32 v[3:4], null, s7, s0, v[2:3]
	s_delay_alu instid0(VALU_DEP_2) | instskip(SKIP_3) | instid1(VALU_DEP_4)
	v_ashrrev_i32_e32 v1, 31, v0
	v_cmp_gt_i32_e64 s0, s6, v7
	v_dual_mov_b32 v8, v5 :: v_dual_mov_b32 v9, v6
	s_ashr_i32 s7, s6, 31
	v_mul_lo_u32 v2, s6, v3
	s_delay_alu instid0(VALU_DEP_1) | instskip(SKIP_1) | instid1(VALU_DEP_2)
	v_lshl_add_u32 v3, v2, 1, v7
	v_lshlrev_b64 v[1:2], 1, v[0:1]
	v_ashrrev_i32_e32 v4, 31, v3
	s_delay_alu instid0(VALU_DEP_2) | instskip(NEXT) | instid1(VALU_DEP_1)
	v_add_co_u32 v1, s1, s10, v1
	v_add_co_ci_u32_e64 v2, s1, s11, v2, s1
	v_add_co_u32 v3, s1, s2, v3
	s_delay_alu instid0(VALU_DEP_1)
	v_add_co_ci_u32_e64 v4, s1, s3, v4, s1
	s_lshl_b64 s[10:11], s[6:7], 1
	s_set_inst_prefetch_distance 0x1
	s_branch .LBB16_6
	.p2align	6
.LBB16_4:                               ;   in Loop: Header=BB16_6 Depth=1
	s_or_b32 exec_lo, exec_lo, s3
.LBB16_5:                               ;   in Loop: Header=BB16_6 Depth=1
	s_delay_alu instid0(SALU_CYCLE_1) | instskip(SKIP_2) | instid1(VALU_DEP_1)
	s_or_b32 exec_lo, exec_lo, s2
	v_add_nc_u32_e32 v8, -1, v8
	v_add_co_u32 v1, s1, v1, s10
	v_add_co_ci_u32_e64 v2, s1, s11, v2, s1
	s_delay_alu instid0(VALU_DEP_3)
	v_cmp_eq_u32_e64 s1, 0, v8
	v_add_co_u32 v3, s2, v3, s6
	ds_store_b32 v9, v10
	v_add_nc_u32_e32 v9, 4, v9
	v_add_co_ci_u32_e64 v4, s2, s7, v4, s2
	s_or_b32 s12, s1, s12
	s_delay_alu instid0(SALU_CYCLE_1)
	s_and_not1_b32 exec_lo, exec_lo, s12
	s_cbranch_execz .LBB16_9
.LBB16_6:                               ; =>This Inner Loop Header: Depth=1
	v_mov_b32_e32 v10, 0xff800000
	s_and_saveexec_b32 s2, s0
	s_cbranch_execz .LBB16_5
; %bb.7:                                ;   in Loop: Header=BB16_6 Depth=1
	global_load_u8 v10, v[3:4], off
	s_waitcnt vmcnt(0)
	v_cmp_ne_u16_e64 s1, 1, v10
	v_mov_b32_e32 v10, 0xc61c4000
	s_delay_alu instid0(VALU_DEP_2)
	s_and_saveexec_b32 s3, s1
	s_cbranch_execz .LBB16_4
; %bb.8:                                ;   in Loop: Header=BB16_6 Depth=1
	global_load_u16 v10, v[1:2], off
	s_waitcnt vmcnt(0)
	v_lshlrev_b32_e32 v10, 16, v10
	s_delay_alu instid0(VALU_DEP_1)
	v_mul_f32_e32 v10, s4, v10
	s_branch .LBB16_4
.LBB16_9:
	s_set_inst_prefetch_distance 0x2
	s_or_b32 exec_lo, exec_lo, s12
	ds_load_2addr_b32 v[1:2], v6 offset1:1
.LBB16_10:
	s_or_b32 exec_lo, exec_lo, s5
	v_mbcnt_lo_u32_b32 v3, -1, 0
	s_mov_b32 s10, 0
	s_delay_alu instid0(VALU_DEP_1)
	v_xor_b32_e32 v4, 16, v3
	v_xor_b32_e32 v10, 8, v3
	;; [unrolled: 1-line block ×5, first 2 shown]
	v_cmp_gt_i32_e64 s0, 32, v4
	s_delay_alu instid0(VALU_DEP_1) | instskip(SKIP_1) | instid1(VALU_DEP_2)
	v_cndmask_b32_e64 v4, v3, v4, s0
	v_cmp_gt_i32_e64 s0, 32, v10
	v_lshlrev_b32_e32 v8, 2, v4
	s_delay_alu instid0(VALU_DEP_2)
	v_cndmask_b32_e64 v10, v3, v10, s0
	s_waitcnt lgkmcnt(0)
	ds_bpermute_b32 v4, v8, v1
	ds_bpermute_b32 v9, v8, v2
	v_lshlrev_b32_e32 v10, 2, v10
	s_waitcnt lgkmcnt(1)
	v_cmp_lt_f32_e64 s0, v1, v4
	s_delay_alu instid0(VALU_DEP_1)
	v_cndmask_b32_e64 v4, v1, v4, s0
	s_waitcnt lgkmcnt(0)
	v_cmp_lt_f32_e64 s0, v2, v9
	ds_bpermute_b32 v11, v10, v4
	v_cndmask_b32_e64 v9, v2, v9, s0
	v_cmp_gt_i32_e64 s0, 32, v13
	ds_bpermute_b32 v12, v10, v9
	v_cndmask_b32_e64 v13, v3, v13, s0
	s_delay_alu instid0(VALU_DEP_1) | instskip(SKIP_2) | instid1(VALU_DEP_1)
	v_lshlrev_b32_e32 v13, 2, v13
	s_waitcnt lgkmcnt(1)
	v_cmp_lt_f32_e64 s0, v4, v11
	v_cndmask_b32_e64 v4, v4, v11, s0
	s_waitcnt lgkmcnt(0)
	v_cmp_lt_f32_e64 s0, v9, v12
	ds_bpermute_b32 v11, v13, v4
	v_cndmask_b32_e64 v9, v9, v12, s0
	v_cmp_gt_i32_e64 s0, 32, v14
	ds_bpermute_b32 v12, v13, v9
	v_cndmask_b32_e64 v14, v3, v14, s0
	s_delay_alu instid0(VALU_DEP_1) | instskip(SKIP_2) | instid1(VALU_DEP_1)
	v_lshlrev_b32_e32 v14, 2, v14
	s_waitcnt lgkmcnt(1)
	v_cmp_lt_f32_e64 s0, v4, v11
	;; [unrolled: 12-line block ×3, first 2 shown]
	v_cndmask_b32_e64 v3, v4, v11, s0
	s_waitcnt lgkmcnt(0)
	v_cmp_lt_f32_e64 s0, v9, v12
	ds_bpermute_b32 v4, v15, v3
	v_cndmask_b32_e64 v9, v9, v12, s0
	ds_bpermute_b32 v11, v15, v9
	s_waitcnt lgkmcnt(1)
	v_cmp_lt_f32_e64 s0, v3, v4
	s_delay_alu instid0(VALU_DEP_1) | instskip(SKIP_2) | instid1(VALU_DEP_2)
	v_cndmask_b32_e64 v4, v3, v4, s0
	s_waitcnt lgkmcnt(0)
	v_cmp_lt_f32_e64 s0, v9, v11
	v_sub_f32_e32 v1, v1, v4
	s_delay_alu instid0(VALU_DEP_2) | instskip(NEXT) | instid1(VALU_DEP_1)
	v_cndmask_b32_e64 v3, v9, v11, s0
	v_dual_mul_f32 v9, 0x3fb8aa3b, v1 :: v_dual_sub_f32 v2, v2, v3
	v_cmp_ngt_f32_e64 s0, 0xc2ce8ed0, v1
	s_delay_alu instid0(VALU_DEP_2) | instskip(NEXT) | instid1(VALU_DEP_3)
	v_fma_f32 v12, 0x3fb8aa3b, v1, -v9
	v_mul_f32_e32 v11, 0x3fb8aa3b, v2
	v_rndne_f32_e32 v16, v9
	s_delay_alu instid0(VALU_DEP_3) | instskip(NEXT) | instid1(VALU_DEP_3)
	v_fmac_f32_e32 v12, 0x32a5705f, v1
	v_fma_f32 v17, 0x3fb8aa3b, v2, -v11
	v_rndne_f32_e32 v18, v11
	s_delay_alu instid0(VALU_DEP_4) | instskip(NEXT) | instid1(VALU_DEP_3)
	v_sub_f32_e32 v9, v9, v16
	v_fmac_f32_e32 v17, 0x32a5705f, v2
	s_delay_alu instid0(VALU_DEP_3) | instskip(NEXT) | instid1(VALU_DEP_3)
	v_sub_f32_e32 v11, v11, v18
	v_add_f32_e32 v9, v9, v12
	v_cvt_i32_f32_e32 v12, v16
	v_cvt_i32_f32_e32 v16, v18
	s_delay_alu instid0(VALU_DEP_4) | instskip(NEXT) | instid1(VALU_DEP_4)
	v_add_f32_e32 v11, v11, v17
	v_exp_f32_e32 v9, v9
	s_delay_alu instid0(VALU_DEP_1) | instskip(SKIP_3) | instid1(VALU_DEP_2)
	v_exp_f32_e32 v11, v11
	s_waitcnt_depctr 0xfff
	v_ldexp_f32 v9, v9, v12
	v_ldexp_f32 v11, v11, v16
	v_cndmask_b32_e64 v9, 0, v9, s0
	v_cmp_ngt_f32_e64 s0, 0xc2ce8ed0, v2
	s_delay_alu instid0(VALU_DEP_1) | instskip(SKIP_1) | instid1(VALU_DEP_1)
	v_cndmask_b32_e64 v11, 0, v11, s0
	v_cmp_nlt_f32_e64 s0, 0x42b17218, v1
	v_cndmask_b32_e64 v1, 0x7f800000, v9, s0
	v_cmp_nlt_f32_e64 s0, 0x42b17218, v2
	ds_bpermute_b32 v9, v8, v1
	v_cndmask_b32_e64 v2, 0x7f800000, v11, s0
	ds_bpermute_b32 v8, v8, v2
	ds_store_2addr_b32 v6, v1, v2 offset1:1
	s_waitcnt lgkmcnt(2)
	v_add_f32_e32 v9, v1, v9
	ds_bpermute_b32 v11, v10, v9
	s_waitcnt lgkmcnt(2)
	v_add_f32_e32 v8, v2, v8
	ds_bpermute_b32 v10, v10, v8
	s_waitcnt lgkmcnt(0)
	v_dual_add_f32 v9, v9, v11 :: v_dual_add_f32 v8, v8, v10
	ds_bpermute_b32 v10, v13, v9
	ds_bpermute_b32 v11, v13, v8
	s_waitcnt lgkmcnt(0)
	v_dual_add_f32 v9, v9, v10 :: v_dual_add_f32 v10, v8, v11
	ds_bpermute_b32 v8, v14, v9
	;; [unrolled: 4-line block ×3, first 2 shown]
	ds_bpermute_b32 v11, v15, v9
	s_and_saveexec_b32 s0, vcc_lo
	s_cbranch_execz .LBB16_21
; %bb.11:
	v_ashrrev_i32_e32 v1, 31, v0
	v_cmp_eq_f32_e32 vcc_lo, 0xc61c4000, v4
	s_waitcnt lgkmcnt(1)
	v_add_f32_e32 v4, v8, v10
	s_waitcnt lgkmcnt(0)
	v_add_f32_e32 v8, v9, v11
	v_cmp_gt_i32_e64 s0, s6, v7
	v_lshlrev_b64 v[0:1], 1, v[0:1]
	v_cndmask_b32_e64 v2, 1.0, 0, vcc_lo
	v_cmp_eq_f32_e32 vcc_lo, 0xc61c4000, v3
	s_ashr_i32 s7, s6, 31
	s_mov_b64 s[4:5], 0
	s_lshl_b64 s[2:3], s[6:7], 1
	v_cndmask_b32_e64 v3, 1.0, 0, vcc_lo
	v_add_co_u32 v0, vcc_lo, s8, v0
	v_add_co_ci_u32_e32 v1, vcc_lo, s9, v1, vcc_lo
	s_branch .LBB16_15
.LBB16_12:                              ;   in Loop: Header=BB16_15 Depth=1
	s_or_b32 exec_lo, exec_lo, s7
	s_delay_alu instid0(VALU_DEP_1)
	v_lshrrev_b32_e32 v7, 16, v9
.LBB16_13:                              ;   in Loop: Header=BB16_15 Depth=1
	s_or_b32 exec_lo, exec_lo, s6
	global_store_b16 v[0:1], v7, off
.LBB16_14:                              ;   in Loop: Header=BB16_15 Depth=1
	s_or_b32 exec_lo, exec_lo, s1
	s_add_u32 s4, s4, 1
	v_add_co_u32 v0, s1, v0, s2
	v_cmp_eq_u32_e32 vcc_lo, s4, v5
	v_add_co_ci_u32_e64 v1, s1, s3, v1, s1
	v_add_nc_u32_e32 v6, 4, v6
	s_addc_u32 s5, s5, 0
	s_or_b32 s10, vcc_lo, s10
	s_delay_alu instid0(SALU_CYCLE_1)
	s_and_not1_b32 exec_lo, exec_lo, s10
	s_cbranch_execz .LBB16_21
.LBB16_15:                              ; =>This Inner Loop Header: Depth=1
	s_and_saveexec_b32 s1, s0
	s_cbranch_execz .LBB16_14
; %bb.16:                               ;   in Loop: Header=BB16_15 Depth=1
	s_cmp_eq_u32 s4, 1
	s_cselect_b32 vcc_lo, -1, 0
	v_cndmask_b32_e32 v7, v2, v3, vcc_lo
	s_delay_alu instid0(VALU_DEP_1)
	v_cmp_neq_f32_e32 vcc_lo, 0, v7
	v_mov_b32_e32 v7, 0
	s_and_saveexec_b32 s6, vcc_lo
	s_cbranch_execz .LBB16_13
; %bb.17:                               ;   in Loop: Header=BB16_15 Depth=1
	ds_load_b32 v7, v6
	s_cmp_eq_u32 s4, 1
	s_cselect_b32 vcc_lo, -1, 0
	v_cndmask_b32_e32 v9, v4, v8, vcc_lo
	s_waitcnt lgkmcnt(0)
	s_delay_alu instid0(VALU_DEP_1) | instskip(NEXT) | instid1(VALU_DEP_1)
	v_div_scale_f32 v10, null, v9, v9, v7
	v_rcp_f32_e32 v11, v10
	s_waitcnt_depctr 0xfff
	v_fma_f32 v12, -v10, v11, 1.0
	s_delay_alu instid0(VALU_DEP_1) | instskip(SKIP_1) | instid1(VALU_DEP_1)
	v_fmac_f32_e32 v11, v12, v11
	v_div_scale_f32 v12, vcc_lo, v7, v9, v7
	v_mul_f32_e32 v13, v12, v11
	s_delay_alu instid0(VALU_DEP_1) | instskip(NEXT) | instid1(VALU_DEP_1)
	v_fma_f32 v14, -v10, v13, v12
	v_fmac_f32_e32 v13, v14, v11
	s_delay_alu instid0(VALU_DEP_1) | instskip(NEXT) | instid1(VALU_DEP_1)
	v_fma_f32 v10, -v10, v13, v12
	v_div_fmas_f32 v10, v10, v11, v13
	s_delay_alu instid0(VALU_DEP_1) | instskip(NEXT) | instid1(VALU_DEP_1)
	v_div_fixup_f32 v7, v10, v9, v7
	v_and_b32_e32 v9, 0x7f800000, v7
	s_delay_alu instid0(VALU_DEP_1) | instskip(SKIP_1) | instid1(SALU_CYCLE_1)
	v_cmp_ne_u32_e32 vcc_lo, 0x7f800000, v9
                                        ; implicit-def: $vgpr9
	s_and_saveexec_b32 s7, vcc_lo
	s_xor_b32 s7, exec_lo, s7
; %bb.18:                               ;   in Loop: Header=BB16_15 Depth=1
	v_bfe_u32 v9, v7, 16, 1
	s_delay_alu instid0(VALU_DEP_1)
	v_add3_u32 v9, v7, v9, 0x7fff
                                        ; implicit-def: $vgpr7
; %bb.19:                               ;   in Loop: Header=BB16_15 Depth=1
	s_and_not1_saveexec_b32 s7, s7
	s_cbranch_execz .LBB16_12
; %bb.20:                               ;   in Loop: Header=BB16_15 Depth=1
	v_and_b32_e32 v9, 0xffff, v7
	v_or_b32_e32 v10, 0x10000, v7
	s_delay_alu instid0(VALU_DEP_2) | instskip(NEXT) | instid1(VALU_DEP_2)
	v_cmp_eq_u32_e32 vcc_lo, 0, v9
	v_cndmask_b32_e32 v9, v10, v7, vcc_lo
	s_branch .LBB16_12
.LBB16_21:
	s_nop 0
	s_sendmsg sendmsg(MSG_DEALLOC_VGPRS)
	s_endpgm
	.section	.rodata,"a",@progbits
	.p2align	6, 0x0
	.amdhsa_kernel _Z34scaled_masked_softmax_warp_forwardI14__hip_bfloat16S0_fLi5EEvPT0_PKT_PKhT1_iii
		.amdhsa_group_segment_fixed_size 8192
		.amdhsa_private_segment_fixed_size 0
		.amdhsa_kernarg_size 296
		.amdhsa_user_sgpr_count 13
		.amdhsa_user_sgpr_dispatch_ptr 1
		.amdhsa_user_sgpr_queue_ptr 0
		.amdhsa_user_sgpr_kernarg_segment_ptr 1
		.amdhsa_user_sgpr_dispatch_id 0
		.amdhsa_user_sgpr_private_segment_size 0
		.amdhsa_wavefront_size32 1
		.amdhsa_uses_dynamic_stack 0
		.amdhsa_enable_private_segment 0
		.amdhsa_system_sgpr_workgroup_id_x 1
		.amdhsa_system_sgpr_workgroup_id_y 1
		.amdhsa_system_sgpr_workgroup_id_z 1
		.amdhsa_system_sgpr_workgroup_info 0
		.amdhsa_system_vgpr_workitem_id 2
		.amdhsa_next_free_vgpr 19
		.amdhsa_next_free_sgpr 18
		.amdhsa_reserve_vcc 1
		.amdhsa_float_round_mode_32 0
		.amdhsa_float_round_mode_16_64 0
		.amdhsa_float_denorm_mode_32 3
		.amdhsa_float_denorm_mode_16_64 3
		.amdhsa_dx10_clamp 1
		.amdhsa_ieee_mode 1
		.amdhsa_fp16_overflow 0
		.amdhsa_workgroup_processor_mode 1
		.amdhsa_memory_ordered 1
		.amdhsa_forward_progress 0
		.amdhsa_shared_vgpr_count 0
		.amdhsa_exception_fp_ieee_invalid_op 0
		.amdhsa_exception_fp_denorm_src 0
		.amdhsa_exception_fp_ieee_div_zero 0
		.amdhsa_exception_fp_ieee_overflow 0
		.amdhsa_exception_fp_ieee_underflow 0
		.amdhsa_exception_fp_ieee_inexact 0
		.amdhsa_exception_int_div_zero 0
	.end_amdhsa_kernel
	.section	.text._Z34scaled_masked_softmax_warp_forwardI14__hip_bfloat16S0_fLi5EEvPT0_PKT_PKhT1_iii,"axG",@progbits,_Z34scaled_masked_softmax_warp_forwardI14__hip_bfloat16S0_fLi5EEvPT0_PKT_PKhT1_iii,comdat
.Lfunc_end16:
	.size	_Z34scaled_masked_softmax_warp_forwardI14__hip_bfloat16S0_fLi5EEvPT0_PKT_PKhT1_iii, .Lfunc_end16-_Z34scaled_masked_softmax_warp_forwardI14__hip_bfloat16S0_fLi5EEvPT0_PKT_PKhT1_iii
                                        ; -- End function
	.section	.AMDGPU.csdata,"",@progbits
; Kernel info:
; codeLenInByte = 1832
; NumSgprs: 20
; NumVgprs: 19
; ScratchSize: 0
; MemoryBound: 0
; FloatMode: 240
; IeeeMode: 1
; LDSByteSize: 8192 bytes/workgroup (compile time only)
; SGPRBlocks: 2
; VGPRBlocks: 2
; NumSGPRsForWavesPerEU: 20
; NumVGPRsForWavesPerEU: 19
; Occupancy: 16
; WaveLimiterHint : 0
; COMPUTE_PGM_RSRC2:SCRATCH_EN: 0
; COMPUTE_PGM_RSRC2:USER_SGPR: 13
; COMPUTE_PGM_RSRC2:TRAP_HANDLER: 0
; COMPUTE_PGM_RSRC2:TGID_X_EN: 1
; COMPUTE_PGM_RSRC2:TGID_Y_EN: 1
; COMPUTE_PGM_RSRC2:TGID_Z_EN: 1
; COMPUTE_PGM_RSRC2:TIDIG_COMP_CNT: 2
	.section	.text._Z34scaled_masked_softmax_warp_forwardI14__hip_bfloat16S0_fLi6EEvPT0_PKT_PKhT1_iii,"axG",@progbits,_Z34scaled_masked_softmax_warp_forwardI14__hip_bfloat16S0_fLi6EEvPT0_PKT_PKhT1_iii,comdat
	.protected	_Z34scaled_masked_softmax_warp_forwardI14__hip_bfloat16S0_fLi6EEvPT0_PKT_PKhT1_iii ; -- Begin function _Z34scaled_masked_softmax_warp_forwardI14__hip_bfloat16S0_fLi6EEvPT0_PKT_PKhT1_iii
	.globl	_Z34scaled_masked_softmax_warp_forwardI14__hip_bfloat16S0_fLi6EEvPT0_PKT_PKhT1_iii
	.p2align	8
	.type	_Z34scaled_masked_softmax_warp_forwardI14__hip_bfloat16S0_fLi6EEvPT0_PKT_PKhT1_iii,@function
_Z34scaled_masked_softmax_warp_forwardI14__hip_bfloat16S0_fLi6EEvPT0_PKT_PKhT1_iii: ; @_Z34scaled_masked_softmax_warp_forwardI14__hip_bfloat16S0_fLi6EEvPT0_PKT_PKhT1_iii
; %bb.0:
	s_clause 0x2
	s_load_b32 s10, s[2:3], 0x34
	s_load_b128 s[4:7], s[2:3], 0x18
	s_load_b64 s[8:9], s[2:3], 0x28
	s_waitcnt lgkmcnt(0)
	s_lshr_b32 s10, s10, 16
	s_cmp_eq_u32 s7, 1
	s_mov_b32 s7, s13
	s_cbranch_scc1 .LBB17_2
; %bb.1:
	s_mul_i32 s7, s8, s15
	s_delay_alu instid0(SALU_CYCLE_1)
	s_add_i32 s7, s7, s13
.LBB17_2:
	s_load_b64 s[16:17], s[0:1], 0x4
	s_mul_i32 s0, s9, s15
	v_bfe_u32 v1, v0, 10, 10
	s_add_i32 s0, s0, s14
	v_and_b32_e32 v8, 0x3ff, v0
	s_mul_i32 s1, s8, s0
	s_and_b32 s0, 0xffff, s10
	s_add_i32 s1, s1, s13
	s_clause 0x1
	s_load_b128 s[8:11], s[2:3], 0x0
	s_load_b64 s[12:13], s[2:3], 0x10
	v_mad_u64_u32 v[2:3], null, s1, s0, v[1:2]
	v_bfe_u32 v0, v0, 20, 10
	v_add_nc_u32_e32 v9, 32, v8
	s_mov_b32 s14, 0
	s_delay_alu instid0(VALU_DEP_3) | instskip(SKIP_3) | instid1(VALU_DEP_2)
	v_lshlrev_b32_e32 v3, 1, v2
	v_mul_lo_u32 v2, s6, v2
	s_waitcnt lgkmcnt(0)
	s_lshr_b32 s1, s16, 16
	v_sub_nc_u32_e32 v3, s5, v3
	s_mul_i32 s1, s1, s17
	s_delay_alu instid0(SALU_CYCLE_1) | instskip(NEXT) | instid1(VALU_DEP_2)
	v_mul_lo_u32 v4, s1, v8
	v_min_i32_e32 v5, 2, v3
	v_cmp_lt_i32_e32 vcc_lo, 0, v3
	s_delay_alu instid0(VALU_DEP_2) | instskip(NEXT) | instid1(VALU_DEP_4)
	v_max_i32_e32 v6, 1, v5
	v_mad_u32_u24 v4, v1, s17, v4
	s_delay_alu instid0(VALU_DEP_1)
	v_add_lshl_u32 v7, v4, v0, 4
	v_lshl_add_u32 v4, v2, 1, v8
                                        ; implicit-def: $vgpr0
	s_and_saveexec_b32 s5, vcc_lo
	s_cbranch_execz .LBB17_14
; %bb.3:
	v_mad_u64_u32 v[2:3], null, s7, s0, v[1:2]
	s_delay_alu instid0(VALU_DEP_2)
	v_ashrrev_i32_e32 v5, 31, v4
	v_cmp_gt_i32_e64 s0, s6, v8
	v_cmp_gt_i32_e64 s1, s6, v9
	s_ashr_i32 s7, s6, 31
	v_mov_b32_e32 v10, v7
	v_mul_lo_u32 v0, s6, v2
	s_delay_alu instid0(VALU_DEP_1) | instskip(SKIP_2) | instid1(VALU_DEP_3)
	v_lshl_add_u32 v2, v0, 1, v8
	v_lshlrev_b64 v[0:1], 1, v[4:5]
	v_mov_b32_e32 v5, v6
	v_ashrrev_i32_e32 v3, 31, v2
	s_delay_alu instid0(VALU_DEP_3) | instskip(NEXT) | instid1(VALU_DEP_1)
	v_add_co_u32 v0, s2, v0, s10
	v_add_co_ci_u32_e64 v1, s2, s11, v1, s2
	v_add_co_u32 v2, s2, s12, v2
	s_delay_alu instid0(VALU_DEP_1) | instskip(NEXT) | instid1(VALU_DEP_4)
	v_add_co_ci_u32_e64 v3, s2, s13, v3, s2
	v_add_co_u32 v0, s2, v0, 64
	s_delay_alu instid0(VALU_DEP_1) | instskip(NEXT) | instid1(VALU_DEP_4)
	v_add_co_ci_u32_e64 v1, s2, 0, v1, s2
	v_add_co_u32 v2, s2, v2, 32
	s_delay_alu instid0(VALU_DEP_1)
	v_add_co_ci_u32_e64 v3, s2, 0, v3, s2
	s_lshl_b64 s[10:11], s[6:7], 1
	s_branch .LBB17_6
.LBB17_4:                               ;   in Loop: Header=BB17_6 Depth=1
	s_or_b32 exec_lo, exec_lo, s12
.LBB17_5:                               ;   in Loop: Header=BB17_6 Depth=1
	s_delay_alu instid0(SALU_CYCLE_1) | instskip(SKIP_2) | instid1(VALU_DEP_1)
	s_or_b32 exec_lo, exec_lo, s3
	v_add_nc_u32_e32 v5, -1, v5
	v_add_co_u32 v0, s2, v0, s10
	v_add_co_ci_u32_e64 v1, s2, s11, v1, s2
	s_delay_alu instid0(VALU_DEP_3)
	v_cmp_eq_u32_e64 s2, 0, v5
	v_add_co_u32 v2, s3, v2, s6
	ds_store_b32 v10, v11 offset:4
	v_add_nc_u32_e32 v10, 8, v10
	v_add_co_ci_u32_e64 v3, s3, s7, v3, s3
	s_or_b32 s14, s2, s14
	s_delay_alu instid0(SALU_CYCLE_1)
	s_and_not1_b32 exec_lo, exec_lo, s14
	s_cbranch_execz .LBB17_13
.LBB17_6:                               ; =>This Inner Loop Header: Depth=1
	v_dual_mov_b32 v11, 0xff800000 :: v_dual_mov_b32 v12, 0xff800000
	s_and_saveexec_b32 s3, s0
	s_cbranch_execz .LBB17_10
; %bb.7:                                ;   in Loop: Header=BB17_6 Depth=1
	global_load_u8 v12, v[2:3], off offset:-32
	s_waitcnt vmcnt(0)
	v_cmp_ne_u16_e64 s2, 1, v12
	v_mov_b32_e32 v12, 0xc61c4000
	s_delay_alu instid0(VALU_DEP_2)
	s_and_saveexec_b32 s12, s2
	s_cbranch_execz .LBB17_9
; %bb.8:                                ;   in Loop: Header=BB17_6 Depth=1
	global_load_u16 v12, v[0:1], off offset:-64
	s_waitcnt vmcnt(0)
	v_lshlrev_b32_e32 v12, 16, v12
	s_delay_alu instid0(VALU_DEP_1)
	v_mul_f32_e32 v12, s4, v12
.LBB17_9:                               ;   in Loop: Header=BB17_6 Depth=1
	s_or_b32 exec_lo, exec_lo, s12
.LBB17_10:                              ;   in Loop: Header=BB17_6 Depth=1
	s_delay_alu instid0(SALU_CYCLE_1)
	s_or_b32 exec_lo, exec_lo, s3
	ds_store_b32 v10, v12
	s_and_saveexec_b32 s3, s1
	s_cbranch_execz .LBB17_5
; %bb.11:                               ;   in Loop: Header=BB17_6 Depth=1
	global_load_u8 v11, v[2:3], off
	s_waitcnt vmcnt(0)
	v_cmp_ne_u16_e64 s2, 1, v11
	v_mov_b32_e32 v11, 0xc61c4000
	s_delay_alu instid0(VALU_DEP_2)
	s_and_saveexec_b32 s12, s2
	s_cbranch_execz .LBB17_4
; %bb.12:                               ;   in Loop: Header=BB17_6 Depth=1
	global_load_u16 v11, v[0:1], off
	s_waitcnt vmcnt(0)
	v_lshlrev_b32_e32 v11, 16, v11
	s_delay_alu instid0(VALU_DEP_1)
	v_mul_f32_e32 v11, s4, v11
	s_branch .LBB17_4
.LBB17_13:
	s_or_b32 exec_lo, exec_lo, s14
	ds_load_b128 v[0:3], v7
.LBB17_14:
	s_or_b32 exec_lo, exec_lo, s5
	v_mbcnt_lo_u32_b32 v5, -1, 0
	s_mov_b32 s3, 0
	s_delay_alu instid0(VALU_DEP_1) | instskip(SKIP_1) | instid1(VALU_DEP_2)
	v_xor_b32_e32 v10, 16, v5
	v_xor_b32_e32 v15, 8, v5
	v_cmp_gt_i32_e64 s0, 32, v10
	s_delay_alu instid0(VALU_DEP_1) | instskip(SKIP_2) | instid1(VALU_DEP_2)
	v_cndmask_b32_e64 v10, v5, v10, s0
	s_waitcnt lgkmcnt(0)
	v_cmp_gt_f32_e64 s0, v0, v1
	v_lshlrev_b32_e32 v12, 2, v10
	s_delay_alu instid0(VALU_DEP_2)
	v_cndmask_b32_e64 v11, v1, v0, s0
	v_cmp_gt_f32_e64 s0, v2, v3
	ds_bpermute_b32 v13, v12, v11
	v_cndmask_b32_e64 v10, v3, v2, s0
	v_cmp_gt_i32_e64 s0, 32, v15
	ds_bpermute_b32 v14, v12, v10
	v_cndmask_b32_e64 v15, v5, v15, s0
	s_delay_alu instid0(VALU_DEP_1) | instskip(SKIP_3) | instid1(VALU_DEP_1)
	v_lshlrev_b32_e32 v18, 2, v15
	v_xor_b32_e32 v15, 4, v5
	s_waitcnt lgkmcnt(1)
	v_cmp_lt_f32_e64 s0, v11, v13
	v_cndmask_b32_e64 v11, v11, v13, s0
	s_waitcnt lgkmcnt(0)
	v_cmp_lt_f32_e64 s0, v10, v14
	ds_bpermute_b32 v13, v18, v11
	v_cndmask_b32_e64 v10, v10, v14, s0
	v_cmp_gt_i32_e64 s0, 32, v15
	ds_bpermute_b32 v14, v18, v10
	v_cndmask_b32_e64 v15, v5, v15, s0
	s_delay_alu instid0(VALU_DEP_1) | instskip(SKIP_3) | instid1(VALU_DEP_1)
	v_lshlrev_b32_e32 v19, 2, v15
	v_xor_b32_e32 v15, 2, v5
	s_waitcnt lgkmcnt(1)
	v_cmp_lt_f32_e64 s0, v11, v13
	v_cndmask_b32_e64 v11, v11, v13, s0
	s_waitcnt lgkmcnt(0)
	v_cmp_lt_f32_e64 s0, v10, v14
	;; [unrolled: 13-line block ×3, first 2 shown]
	ds_bpermute_b32 v13, v20, v11
	v_cndmask_b32_e64 v10, v10, v14, s0
	v_cmp_gt_i32_e64 s0, 32, v15
	ds_bpermute_b32 v14, v20, v10
	v_cndmask_b32_e64 v5, v5, v15, s0
	s_delay_alu instid0(VALU_DEP_1) | instskip(SKIP_2) | instid1(VALU_DEP_1)
	v_lshlrev_b32_e32 v5, 2, v5
	s_waitcnt lgkmcnt(1)
	v_cmp_lt_f32_e64 s0, v11, v13
	v_cndmask_b32_e64 v11, v11, v13, s0
	s_waitcnt lgkmcnt(0)
	v_cmp_lt_f32_e64 s0, v10, v14
	ds_bpermute_b32 v13, v5, v11
	v_cndmask_b32_e64 v10, v10, v14, s0
	s_waitcnt lgkmcnt(0)
	v_cmp_lt_f32_e64 s0, v11, v13
	s_delay_alu instid0(VALU_DEP_1) | instskip(NEXT) | instid1(VALU_DEP_1)
	v_cndmask_b32_e64 v11, v11, v13, s0
	v_sub_f32_e32 v0, v0, v11
	ds_bpermute_b32 v14, v5, v10
	v_sub_f32_e32 v1, v1, v11
	v_mul_f32_e32 v13, 0x3fb8aa3b, v0
	s_delay_alu instid0(VALU_DEP_1) | instskip(SKIP_1) | instid1(VALU_DEP_1)
	v_fma_f32 v17, 0x3fb8aa3b, v0, -v13
	v_rndne_f32_e32 v21, v13
	v_sub_f32_e32 v13, v13, v21
	s_waitcnt lgkmcnt(0)
	v_cmp_lt_f32_e64 s0, v10, v14
	s_delay_alu instid0(VALU_DEP_1) | instskip(SKIP_1) | instid1(VALU_DEP_2)
	v_cndmask_b32_e64 v10, v10, v14, s0
	v_cmp_ngt_f32_e64 s0, 0xc2ce8ed0, v0
	v_sub_f32_e32 v2, v2, v10
	v_dual_sub_f32 v3, v3, v10 :: v_dual_mul_f32 v14, 0x3fb8aa3b, v1
	s_delay_alu instid0(VALU_DEP_1) | instskip(NEXT) | instid1(VALU_DEP_2)
	v_dual_mul_f32 v15, 0x3fb8aa3b, v2 :: v_dual_mul_f32 v16, 0x3fb8aa3b, v3
	v_fma_f32 v22, 0x3fb8aa3b, v1, -v14
	v_rndne_f32_e32 v23, v14
	v_fmac_f32_e32 v17, 0x32a5705f, v0
	s_delay_alu instid0(VALU_DEP_4) | instskip(SKIP_2) | instid1(VALU_DEP_4)
	v_fma_f32 v24, 0x3fb8aa3b, v2, -v15
	v_rndne_f32_e32 v25, v15
	v_fmac_f32_e32 v22, 0x32a5705f, v1
	v_dual_sub_f32 v14, v14, v23 :: v_dual_add_f32 v13, v13, v17
	s_delay_alu instid0(VALU_DEP_4) | instskip(SKIP_2) | instid1(VALU_DEP_4)
	v_fmac_f32_e32 v24, 0x32a5705f, v2
	v_fma_f32 v26, 0x3fb8aa3b, v3, -v16
	v_rndne_f32_e32 v27, v16
	v_dual_sub_f32 v15, v15, v25 :: v_dual_add_f32 v14, v14, v22
	v_exp_f32_e32 v13, v13
	s_delay_alu instid0(VALU_DEP_3) | instskip(NEXT) | instid1(VALU_DEP_2)
	v_fmac_f32_e32 v26, 0x32a5705f, v3
	v_dual_sub_f32 v16, v16, v27 :: v_dual_add_f32 v15, v15, v24
	s_delay_alu instid0(VALU_DEP_3) | instskip(SKIP_2) | instid1(VALU_DEP_3)
	v_exp_f32_e32 v14, v14
	v_cvt_i32_f32_e32 v17, v21
	v_cvt_i32_f32_e32 v21, v23
	v_add_f32_e32 v16, v16, v26
	v_exp_f32_e32 v15, v15
	v_cvt_i32_f32_e32 v22, v25
	s_delay_alu instid0(TRANS32_DEP_3) | instskip(SKIP_2) | instid1(TRANS32_DEP_3)
	v_ldexp_f32 v13, v13, v17
	v_cvt_i32_f32_e32 v23, v27
	v_exp_f32_e32 v16, v16
	v_ldexp_f32 v14, v14, v21
	s_delay_alu instid0(VALU_DEP_3) | instskip(SKIP_1) | instid1(TRANS32_DEP_2)
	v_cndmask_b32_e64 v13, 0, v13, s0
	v_cmp_ngt_f32_e64 s0, 0xc2ce8ed0, v1
	v_ldexp_f32 v15, v15, v22
	s_delay_alu instid0(VALU_DEP_2) | instskip(SKIP_1) | instid1(TRANS32_DEP_1)
	v_cndmask_b32_e64 v17, 0, v14, s0
	v_cmp_ngt_f32_e64 s0, 0xc2ce8ed0, v2
	v_ldexp_f32 v16, v16, v23
	s_delay_alu instid0(VALU_DEP_2) | instskip(SKIP_1) | instid1(VALU_DEP_1)
	v_cndmask_b32_e64 v21, 0, v15, s0
	v_cmp_ngt_f32_e64 s0, 0xc2ce8ed0, v3
	v_cndmask_b32_e64 v22, 0, v16, s0
	v_cmp_nlt_f32_e64 s0, 0x42b17218, v0
	s_delay_alu instid0(VALU_DEP_1) | instskip(SKIP_1) | instid1(VALU_DEP_1)
	v_cndmask_b32_e64 v14, 0x7f800000, v13, s0
	v_cmp_nlt_f32_e64 s0, 0x42b17218, v1
	v_cndmask_b32_e64 v15, 0x7f800000, v17, s0
	v_cmp_nlt_f32_e64 s0, 0x42b17218, v2
	s_delay_alu instid0(VALU_DEP_2) | instskip(NEXT) | instid1(VALU_DEP_2)
	v_add_f32_e32 v0, v14, v15
	v_cndmask_b32_e64 v16, 0x7f800000, v21, s0
	v_cmp_nlt_f32_e64 s0, 0x42b17218, v3
	ds_bpermute_b32 v2, v12, v0
	v_cndmask_b32_e64 v17, 0x7f800000, v22, s0
	s_delay_alu instid0(VALU_DEP_1)
	v_add_f32_e32 v1, v16, v17
	ds_store_b128 v7, v[14:17]
	ds_bpermute_b32 v3, v12, v1
	s_waitcnt lgkmcnt(0)
	v_add_f32_e32 v1, v1, v3
	ds_bpermute_b32 v3, v18, v1
	s_waitcnt lgkmcnt(0)
	v_dual_add_f32 v0, v0, v2 :: v_dual_add_f32 v1, v1, v3
	ds_bpermute_b32 v2, v18, v0
	ds_bpermute_b32 v3, v19, v1
	s_waitcnt lgkmcnt(0)
	v_dual_add_f32 v0, v0, v2 :: v_dual_add_f32 v1, v1, v3
	ds_bpermute_b32 v2, v19, v0
	;; [unrolled: 4-line block ×3, first 2 shown]
	ds_bpermute_b32 v13, v5, v1
	s_waitcnt lgkmcnt(1)
	v_add_f32_e32 v0, v0, v2
	ds_bpermute_b32 v12, v5, v0
	s_and_saveexec_b32 s0, vcc_lo
	s_cbranch_execz .LBB17_32
; %bb.15:
	v_ashrrev_i32_e32 v5, 31, v4
	v_cmp_eq_f32_e32 vcc_lo, 0xc61c4000, v11
	v_cmp_gt_i32_e64 s0, s6, v8
	v_cmp_gt_i32_e64 s1, s6, v9
	s_ashr_i32 s7, s6, 31
	v_lshlrev_b64 v[14:15], 1, v[4:5]
	v_cndmask_b32_e64 v2, 1.0, 0, vcc_lo
	v_cmp_eq_f32_e32 vcc_lo, 0xc61c4000, v10
	s_waitcnt lgkmcnt(0)
	v_dual_add_f32 v4, v0, v12 :: v_dual_add_f32 v5, v1, v13
	s_lshl_b64 s[4:5], s[6:7], 1
	s_mov_b64 s[6:7], 0
	v_cndmask_b32_e64 v3, 1.0, 0, vcc_lo
	v_add_co_u32 v0, vcc_lo, v14, s8
	v_add_co_ci_u32_e32 v1, vcc_lo, s9, v15, vcc_lo
	s_delay_alu instid0(VALU_DEP_2) | instskip(NEXT) | instid1(VALU_DEP_2)
	v_add_co_u32 v0, vcc_lo, v0, 64
	v_add_co_ci_u32_e32 v1, vcc_lo, 0, v1, vcc_lo
	s_branch .LBB17_19
.LBB17_16:                              ;   in Loop: Header=BB17_19 Depth=1
	s_or_b32 exec_lo, exec_lo, s2
	s_delay_alu instid0(VALU_DEP_1)
	v_lshrrev_b32_e32 v9, 16, v9
.LBB17_17:                              ;   in Loop: Header=BB17_19 Depth=1
	s_or_b32 exec_lo, exec_lo, s9
	global_store_b16 v[0:1], v9, off
.LBB17_18:                              ;   in Loop: Header=BB17_19 Depth=1
	s_or_b32 exec_lo, exec_lo, s8
	s_add_u32 s6, s6, 1
	v_add_co_u32 v0, s2, v0, s4
	v_cmp_eq_u32_e32 vcc_lo, s6, v6
	v_add_nc_u32_e32 v7, 8, v7
	v_add_co_ci_u32_e64 v1, s2, s5, v1, s2
	s_addc_u32 s7, s7, 0
	s_or_b32 s3, vcc_lo, s3
	s_delay_alu instid0(SALU_CYCLE_1)
	s_and_not1_b32 exec_lo, exec_lo, s3
	s_cbranch_execz .LBB17_32
.LBB17_19:                              ; =>This Inner Loop Header: Depth=1
	s_and_saveexec_b32 s8, s0
	s_cbranch_execz .LBB17_18
; %bb.20:                               ;   in Loop: Header=BB17_19 Depth=1
	s_cmp_eq_u32 s6, 1
	s_cselect_b32 vcc_lo, -1, 0
	v_dual_cndmask_b32 v9, v2, v3 :: v_dual_cndmask_b32 v8, v4, v5
	s_delay_alu instid0(VALU_DEP_1) | instskip(SKIP_1) | instid1(VALU_DEP_2)
	v_cmp_neq_f32_e64 s2, 0, v9
	v_mov_b32_e32 v9, 0
	s_and_saveexec_b32 s9, s2
	s_cbranch_execz .LBB17_26
; %bb.21:                               ;   in Loop: Header=BB17_19 Depth=1
	ds_load_b32 v9, v7
	s_waitcnt lgkmcnt(0)
	v_div_scale_f32 v10, null, v8, v8, v9
	s_delay_alu instid0(VALU_DEP_1) | instskip(SKIP_2) | instid1(VALU_DEP_1)
	v_rcp_f32_e32 v11, v10
	s_waitcnt_depctr 0xfff
	v_fma_f32 v12, -v10, v11, 1.0
	v_fmac_f32_e32 v11, v12, v11
	v_div_scale_f32 v12, vcc_lo, v9, v8, v9
	s_delay_alu instid0(VALU_DEP_1) | instskip(NEXT) | instid1(VALU_DEP_1)
	v_mul_f32_e32 v13, v12, v11
	v_fma_f32 v14, -v10, v13, v12
	s_delay_alu instid0(VALU_DEP_1) | instskip(NEXT) | instid1(VALU_DEP_1)
	v_fmac_f32_e32 v13, v14, v11
	v_fma_f32 v10, -v10, v13, v12
	s_delay_alu instid0(VALU_DEP_1) | instskip(NEXT) | instid1(VALU_DEP_1)
	v_div_fmas_f32 v10, v10, v11, v13
	v_div_fixup_f32 v9, v10, v8, v9
	s_delay_alu instid0(VALU_DEP_1) | instskip(NEXT) | instid1(VALU_DEP_1)
	v_and_b32_e32 v10, 0x7f800000, v9
	v_cmp_ne_u32_e32 vcc_lo, 0x7f800000, v10
                                        ; implicit-def: $vgpr10
	s_and_saveexec_b32 s10, vcc_lo
	s_delay_alu instid0(SALU_CYCLE_1)
	s_xor_b32 s10, exec_lo, s10
; %bb.22:                               ;   in Loop: Header=BB17_19 Depth=1
	v_bfe_u32 v10, v9, 16, 1
	s_delay_alu instid0(VALU_DEP_1)
	v_add3_u32 v10, v9, v10, 0x7fff
                                        ; implicit-def: $vgpr9
; %bb.23:                               ;   in Loop: Header=BB17_19 Depth=1
	s_and_not1_saveexec_b32 s10, s10
; %bb.24:                               ;   in Loop: Header=BB17_19 Depth=1
	v_and_b32_e32 v10, 0xffff, v9
	v_or_b32_e32 v11, 0x10000, v9
	s_delay_alu instid0(VALU_DEP_2) | instskip(NEXT) | instid1(VALU_DEP_2)
	v_cmp_eq_u32_e32 vcc_lo, 0, v10
	v_cndmask_b32_e32 v10, v11, v9, vcc_lo
; %bb.25:                               ;   in Loop: Header=BB17_19 Depth=1
	s_or_b32 exec_lo, exec_lo, s10
	s_delay_alu instid0(VALU_DEP_1)
	v_lshrrev_b32_e32 v9, 16, v10
.LBB17_26:                              ;   in Loop: Header=BB17_19 Depth=1
	s_or_b32 exec_lo, exec_lo, s9
	global_store_b16 v[0:1], v9, off offset:-64
	s_and_b32 exec_lo, exec_lo, s1
	s_cbranch_execz .LBB17_18
; %bb.27:                               ;   in Loop: Header=BB17_19 Depth=1
	v_mov_b32_e32 v9, 0
	s_and_saveexec_b32 s9, s2
	s_cbranch_execz .LBB17_17
; %bb.28:                               ;   in Loop: Header=BB17_19 Depth=1
	ds_load_b32 v9, v7 offset:4
	s_waitcnt lgkmcnt(0)
	v_div_scale_f32 v10, null, v8, v8, v9
	s_delay_alu instid0(VALU_DEP_1) | instskip(SKIP_2) | instid1(VALU_DEP_1)
	v_rcp_f32_e32 v11, v10
	s_waitcnt_depctr 0xfff
	v_fma_f32 v12, -v10, v11, 1.0
	v_fmac_f32_e32 v11, v12, v11
	v_div_scale_f32 v12, vcc_lo, v9, v8, v9
	s_delay_alu instid0(VALU_DEP_1) | instskip(NEXT) | instid1(VALU_DEP_1)
	v_mul_f32_e32 v13, v12, v11
	v_fma_f32 v14, -v10, v13, v12
	s_delay_alu instid0(VALU_DEP_1) | instskip(NEXT) | instid1(VALU_DEP_1)
	v_fmac_f32_e32 v13, v14, v11
	v_fma_f32 v10, -v10, v13, v12
	s_delay_alu instid0(VALU_DEP_1) | instskip(NEXT) | instid1(VALU_DEP_1)
	v_div_fmas_f32 v10, v10, v11, v13
	v_div_fixup_f32 v8, v10, v8, v9
	s_delay_alu instid0(VALU_DEP_1) | instskip(NEXT) | instid1(VALU_DEP_1)
	v_and_b32_e32 v9, 0x7f800000, v8
	v_cmp_ne_u32_e32 vcc_lo, 0x7f800000, v9
                                        ; implicit-def: $vgpr9
	s_and_saveexec_b32 s2, vcc_lo
	s_delay_alu instid0(SALU_CYCLE_1)
	s_xor_b32 s2, exec_lo, s2
; %bb.29:                               ;   in Loop: Header=BB17_19 Depth=1
	v_bfe_u32 v9, v8, 16, 1
	s_delay_alu instid0(VALU_DEP_1)
	v_add3_u32 v9, v8, v9, 0x7fff
                                        ; implicit-def: $vgpr8
; %bb.30:                               ;   in Loop: Header=BB17_19 Depth=1
	s_and_not1_saveexec_b32 s2, s2
	s_cbranch_execz .LBB17_16
; %bb.31:                               ;   in Loop: Header=BB17_19 Depth=1
	v_and_b32_e32 v9, 0xffff, v8
	v_or_b32_e32 v10, 0x10000, v8
	s_delay_alu instid0(VALU_DEP_2) | instskip(NEXT) | instid1(VALU_DEP_2)
	v_cmp_eq_u32_e32 vcc_lo, 0, v9
	v_cndmask_b32_e32 v9, v10, v8, vcc_lo
	s_branch .LBB17_16
.LBB17_32:
	s_nop 0
	s_sendmsg sendmsg(MSG_DEALLOC_VGPRS)
	s_endpgm
	.section	.rodata,"a",@progbits
	.p2align	6, 0x0
	.amdhsa_kernel _Z34scaled_masked_softmax_warp_forwardI14__hip_bfloat16S0_fLi6EEvPT0_PKT_PKhT1_iii
		.amdhsa_group_segment_fixed_size 16384
		.amdhsa_private_segment_fixed_size 0
		.amdhsa_kernarg_size 296
		.amdhsa_user_sgpr_count 13
		.amdhsa_user_sgpr_dispatch_ptr 1
		.amdhsa_user_sgpr_queue_ptr 0
		.amdhsa_user_sgpr_kernarg_segment_ptr 1
		.amdhsa_user_sgpr_dispatch_id 0
		.amdhsa_user_sgpr_private_segment_size 0
		.amdhsa_wavefront_size32 1
		.amdhsa_uses_dynamic_stack 0
		.amdhsa_enable_private_segment 0
		.amdhsa_system_sgpr_workgroup_id_x 1
		.amdhsa_system_sgpr_workgroup_id_y 1
		.amdhsa_system_sgpr_workgroup_id_z 1
		.amdhsa_system_sgpr_workgroup_info 0
		.amdhsa_system_vgpr_workitem_id 2
		.amdhsa_next_free_vgpr 28
		.amdhsa_next_free_sgpr 18
		.amdhsa_reserve_vcc 1
		.amdhsa_float_round_mode_32 0
		.amdhsa_float_round_mode_16_64 0
		.amdhsa_float_denorm_mode_32 3
		.amdhsa_float_denorm_mode_16_64 3
		.amdhsa_dx10_clamp 1
		.amdhsa_ieee_mode 1
		.amdhsa_fp16_overflow 0
		.amdhsa_workgroup_processor_mode 1
		.amdhsa_memory_ordered 1
		.amdhsa_forward_progress 0
		.amdhsa_shared_vgpr_count 0
		.amdhsa_exception_fp_ieee_invalid_op 0
		.amdhsa_exception_fp_denorm_src 0
		.amdhsa_exception_fp_ieee_div_zero 0
		.amdhsa_exception_fp_ieee_overflow 0
		.amdhsa_exception_fp_ieee_underflow 0
		.amdhsa_exception_fp_ieee_inexact 0
		.amdhsa_exception_int_div_zero 0
	.end_amdhsa_kernel
	.section	.text._Z34scaled_masked_softmax_warp_forwardI14__hip_bfloat16S0_fLi6EEvPT0_PKT_PKhT1_iii,"axG",@progbits,_Z34scaled_masked_softmax_warp_forwardI14__hip_bfloat16S0_fLi6EEvPT0_PKT_PKhT1_iii,comdat
.Lfunc_end17:
	.size	_Z34scaled_masked_softmax_warp_forwardI14__hip_bfloat16S0_fLi6EEvPT0_PKT_PKhT1_iii, .Lfunc_end17-_Z34scaled_masked_softmax_warp_forwardI14__hip_bfloat16S0_fLi6EEvPT0_PKT_PKhT1_iii
                                        ; -- End function
	.section	.AMDGPU.csdata,"",@progbits
; Kernel info:
; codeLenInByte = 2488
; NumSgprs: 20
; NumVgprs: 28
; ScratchSize: 0
; MemoryBound: 0
; FloatMode: 240
; IeeeMode: 1
; LDSByteSize: 16384 bytes/workgroup (compile time only)
; SGPRBlocks: 2
; VGPRBlocks: 3
; NumSGPRsForWavesPerEU: 20
; NumVGPRsForWavesPerEU: 28
; Occupancy: 16
; WaveLimiterHint : 0
; COMPUTE_PGM_RSRC2:SCRATCH_EN: 0
; COMPUTE_PGM_RSRC2:USER_SGPR: 13
; COMPUTE_PGM_RSRC2:TRAP_HANDLER: 0
; COMPUTE_PGM_RSRC2:TGID_X_EN: 1
; COMPUTE_PGM_RSRC2:TGID_Y_EN: 1
; COMPUTE_PGM_RSRC2:TGID_Z_EN: 1
; COMPUTE_PGM_RSRC2:TIDIG_COMP_CNT: 2
	.section	.text._Z34scaled_masked_softmax_warp_forwardI14__hip_bfloat16S0_fLi7EEvPT0_PKT_PKhT1_iii,"axG",@progbits,_Z34scaled_masked_softmax_warp_forwardI14__hip_bfloat16S0_fLi7EEvPT0_PKT_PKhT1_iii,comdat
	.protected	_Z34scaled_masked_softmax_warp_forwardI14__hip_bfloat16S0_fLi7EEvPT0_PKT_PKhT1_iii ; -- Begin function _Z34scaled_masked_softmax_warp_forwardI14__hip_bfloat16S0_fLi7EEvPT0_PKT_PKhT1_iii
	.globl	_Z34scaled_masked_softmax_warp_forwardI14__hip_bfloat16S0_fLi7EEvPT0_PKT_PKhT1_iii
	.p2align	8
	.type	_Z34scaled_masked_softmax_warp_forwardI14__hip_bfloat16S0_fLi7EEvPT0_PKT_PKhT1_iii,@function
_Z34scaled_masked_softmax_warp_forwardI14__hip_bfloat16S0_fLi7EEvPT0_PKT_PKhT1_iii: ; @_Z34scaled_masked_softmax_warp_forwardI14__hip_bfloat16S0_fLi7EEvPT0_PKT_PKhT1_iii
; %bb.0:
	s_clause 0x2
	s_load_b32 s10, s[2:3], 0x34
	s_load_b128 s[4:7], s[2:3], 0x18
	s_load_b64 s[8:9], s[2:3], 0x28
	s_waitcnt lgkmcnt(0)
	s_lshr_b32 s10, s10, 16
	s_cmp_eq_u32 s7, 1
	s_mov_b32 s7, s13
	s_cbranch_scc1 .LBB18_2
; %bb.1:
	s_mul_i32 s7, s8, s15
	s_delay_alu instid0(SALU_CYCLE_1)
	s_add_i32 s7, s7, s13
.LBB18_2:
	s_load_b64 s[16:17], s[0:1], 0x4
	s_mul_i32 s0, s9, s15
	v_bfe_u32 v1, v0, 10, 10
	s_add_i32 s0, s0, s14
	s_mov_b32 s12, 0
	s_mul_i32 s1, s8, s0
	s_and_b32 s0, 0xffff, s10
	s_add_i32 s1, s1, s13
	s_clause 0x1
	s_load_b128 s[8:11], s[2:3], 0x0
	s_load_b64 s[2:3], s[2:3], 0x10
	v_mad_u64_u32 v[2:3], null, s1, s0, v[1:2]
	v_and_b32_e32 v3, 0x3ff, v0
	v_bfe_u32 v0, v0, 20, 10
	s_delay_alu instid0(VALU_DEP_2) | instskip(NEXT) | instid1(VALU_DEP_4)
	v_lshlrev_b32_e32 v12, 2, v3
	v_lshlrev_b32_e32 v4, 1, v2
	v_mul_lo_u32 v2, s6, v2
	s_waitcnt lgkmcnt(0)
	s_lshr_b32 s1, s16, 16
	s_delay_alu instid0(VALU_DEP_2) | instskip(SKIP_1) | instid1(SALU_CYCLE_1)
	v_sub_nc_u32_e32 v4, s5, v4
	s_mul_i32 s1, s1, s17
	v_mul_lo_u32 v5, s1, v3
	s_delay_alu instid0(VALU_DEP_3) | instskip(NEXT) | instid1(VALU_DEP_3)
	v_lshl_add_u32 v8, v2, 1, v12
	v_min_i32_e32 v6, 2, v4
	v_cmp_lt_i32_e32 vcc_lo, 0, v4
                                        ; implicit-def: $vgpr4
	s_delay_alu instid0(VALU_DEP_2) | instskip(SKIP_1) | instid1(VALU_DEP_1)
	v_max_i32_e32 v10, 1, v6
	v_mad_u32_u24 v5, v1, s17, v5
	v_add_lshl_u32 v11, v5, v0, 5
                                        ; implicit-def: $vgpr0
	s_and_saveexec_b32 s5, vcc_lo
	s_cbranch_execz .LBB18_14
; %bb.3:
	v_mad_u64_u32 v[2:3], null, s7, s0, v[1:2]
	v_ashrrev_i32_e32 v9, 31, v8
	v_cmp_le_i32_e64 s0, s6, v12
	s_ashr_i32 s7, s6, 31
	v_mov_b32_e32 v7, v10
	s_delay_alu instid0(VALU_DEP_4) | instskip(SKIP_2) | instid1(VALU_DEP_2)
	v_mul_lo_u32 v0, s6, v2
	v_lshlrev_b64 v[1:2], 1, v[8:9]
	v_mov_b32_e32 v9, v11
	v_add_co_u32 v3, s1, s10, v1
	s_delay_alu instid0(VALU_DEP_4) | instskip(NEXT) | instid1(VALU_DEP_4)
	v_lshl_add_u32 v5, v0, 1, v12
	v_add_co_ci_u32_e64 v4, s1, s11, v2, s1
	v_mov_b32_e32 v0, 0xff800000
	s_lshl_b64 s[10:11], s[6:7], 1
	s_delay_alu instid0(VALU_DEP_3) | instskip(SKIP_1) | instid1(VALU_DEP_1)
	v_ashrrev_i32_e32 v6, 31, v5
	v_add_co_u32 v5, s1, s2, v5
	v_add_co_ci_u32_e64 v6, s1, s3, v6, s1
	s_branch .LBB18_6
.LBB18_4:                               ;   in Loop: Header=BB18_6 Depth=1
	s_or_b32 exec_lo, exec_lo, s3
.LBB18_5:                               ;   in Loop: Header=BB18_6 Depth=1
	s_delay_alu instid0(SALU_CYCLE_1) | instskip(SKIP_2) | instid1(VALU_DEP_1)
	s_or_b32 exec_lo, exec_lo, s2
	v_add_nc_u32_e32 v7, -1, v7
	v_add_co_u32 v3, s1, v3, s10
	v_add_co_ci_u32_e64 v4, s1, s11, v4, s1
	s_delay_alu instid0(VALU_DEP_3)
	v_cmp_eq_u32_e64 s1, 0, v7
	v_add_co_u32 v5, s2, v5, s6
	ds_store_b32 v9, v13 offset:12
	v_add_nc_u32_e32 v9, 16, v9
	v_add_co_ci_u32_e64 v6, s2, s7, v6, s2
	s_or_b32 s12, s1, s12
	s_delay_alu instid0(SALU_CYCLE_1)
	s_and_not1_b32 exec_lo, exec_lo, s12
	s_cbranch_execz .LBB18_13
.LBB18_6:                               ; =>This Inner Loop Header: Depth=1
                                        ; implicit-def: $sgpr3
	s_and_saveexec_b32 s1, s0
	s_delay_alu instid0(SALU_CYCLE_1)
	s_xor_b32 s1, exec_lo, s1
	s_cbranch_execz .LBB18_8
; %bb.7:                                ;   in Loop: Header=BB18_6 Depth=1
	v_mov_b32_e32 v1, v0
	v_mov_b32_e32 v2, v0
	s_mov_b32 s3, 0xff800000
	ds_store_b96 v9, v[0:2]
.LBB18_8:                               ;   in Loop: Header=BB18_6 Depth=1
	s_or_saveexec_b32 s2, s1
	v_mov_b32_e32 v13, s3
	s_xor_b32 exec_lo, exec_lo, s2
	s_cbranch_execz .LBB18_5
; %bb.9:                                ;   in Loop: Header=BB18_6 Depth=1
	global_load_b64 v[1:2], v[3:4], off
	global_load_b32 v14, v[5:6], off
	s_mov_b32 s3, exec_lo
	s_waitcnt vmcnt(1)
	v_lshlrev_b32_e32 v13, 16, v1
	s_waitcnt vmcnt(0)
	v_lshrrev_b32_e32 v15, 8, v14
	v_and_b32_e32 v18, 0xff, v14
	v_and_b32_e32 v16, 0xffff0000, v1
	v_lshrrev_b32_e32 v17, 16, v14
	v_mul_f32_e32 v13, s4, v13
	v_and_b32_e32 v15, 0xff, v15
	v_cmp_ne_u16_e64 s1, 1, v18
	s_delay_alu instid0(VALU_DEP_4) | instskip(NEXT) | instid1(VALU_DEP_2)
	v_dual_mul_f32 v19, s4, v16 :: v_dual_and_b32 v20, 0xff, v17
	v_cndmask_b32_e64 v16, 0xc61c4000, v13, s1
	s_delay_alu instid0(VALU_DEP_4) | instskip(SKIP_2) | instid1(VALU_DEP_3)
	v_cmp_ne_u16_e64 s1, 1, v15
	v_mov_b32_e32 v13, 0xc61c4000
	v_mov_b32_e32 v15, 0xc61c4000
	v_cndmask_b32_e64 v17, 0xc61c4000, v19, s1
	ds_store_b64 v9, v[16:17]
	v_cmpx_ne_u16_e32 1, v20
; %bb.10:                               ;   in Loop: Header=BB18_6 Depth=1
	v_alignbit_b32 v1, v2, v1, 16
	s_delay_alu instid0(VALU_DEP_1) | instskip(NEXT) | instid1(VALU_DEP_1)
	v_and_b32_e32 v1, 0xffff0000, v1
	v_mul_f32_e32 v15, s4, v1
; %bb.11:                               ;   in Loop: Header=BB18_6 Depth=1
	s_or_b32 exec_lo, exec_lo, s3
	v_lshrrev_b32_e32 v1, 24, v14
	s_mov_b32 s3, exec_lo
	ds_store_b32 v9, v15 offset:8
	v_cmpx_ne_u16_e32 1, v1
	s_cbranch_execz .LBB18_4
; %bb.12:                               ;   in Loop: Header=BB18_6 Depth=1
	v_and_b32_e32 v1, 0xffff0000, v2
	s_delay_alu instid0(VALU_DEP_1)
	v_mul_f32_e32 v13, s4, v1
	s_branch .LBB18_4
.LBB18_13:
	s_or_b32 exec_lo, exec_lo, s12
	ds_load_b128 v[0:3], v11
	ds_load_b128 v[4:7], v11 offset:16
.LBB18_14:
	s_or_b32 exec_lo, exec_lo, s5
	s_waitcnt lgkmcnt(1)
	v_cmp_gt_f32_e64 s0, v0, v1
	v_mbcnt_lo_u32_b32 v9, -1, 0
	s_mov_b32 s10, 0
	s_delay_alu instid0(VALU_DEP_2) | instskip(SKIP_3) | instid1(VALU_DEP_2)
	v_cndmask_b32_e64 v0, v1, v0, s0
	s_waitcnt lgkmcnt(0)
	v_cmp_gt_f32_e64 s0, v4, v5
	v_xor_b32_e32 v1, 16, v9
	v_cndmask_b32_e64 v4, v5, v4, s0
	v_cmp_gt_f32_e64 s0, v0, v2
	s_delay_alu instid0(VALU_DEP_1) | instskip(NEXT) | instid1(VALU_DEP_4)
	v_cndmask_b32_e64 v0, v2, v0, s0
	v_cmp_gt_i32_e64 s0, 32, v1
	s_delay_alu instid0(VALU_DEP_1) | instskip(SKIP_1) | instid1(VALU_DEP_1)
	v_cndmask_b32_e64 v1, v9, v1, s0
	v_cmp_gt_f32_e64 s0, v4, v6
	v_cndmask_b32_e64 v2, v6, v4, s0
	v_cmp_gt_f32_e64 s0, v0, v3
	s_delay_alu instid0(VALU_DEP_4) | instskip(SKIP_1) | instid1(VALU_DEP_3)
	v_lshlrev_b32_e32 v6, 2, v1
	v_xor_b32_e32 v4, 8, v9
	v_cndmask_b32_e64 v0, v3, v0, s0
	v_cmp_gt_f32_e64 s0, v2, v7
	s_delay_alu instid0(VALU_DEP_1) | instskip(SKIP_4) | instid1(VALU_DEP_1)
	v_cndmask_b32_e64 v1, v7, v2, s0
	ds_bpermute_b32 v2, v6, v0
	v_cmp_gt_i32_e64 s0, 32, v4
	ds_bpermute_b32 v3, v6, v1
	v_cndmask_b32_e64 v4, v9, v4, s0
	v_lshlrev_b32_e32 v7, 2, v4
	v_xor_b32_e32 v4, 4, v9
	s_waitcnt lgkmcnt(1)
	v_cmp_lt_f32_e64 s0, v0, v2
	s_delay_alu instid0(VALU_DEP_1)
	v_cndmask_b32_e64 v0, v0, v2, s0
	s_waitcnt lgkmcnt(0)
	v_cmp_lt_f32_e64 s0, v1, v3
	ds_bpermute_b32 v2, v7, v0
	v_cndmask_b32_e64 v1, v1, v3, s0
	v_cmp_gt_i32_e64 s0, 32, v4
	ds_bpermute_b32 v3, v7, v1
	v_cndmask_b32_e64 v4, v9, v4, s0
	s_delay_alu instid0(VALU_DEP_1) | instskip(SKIP_3) | instid1(VALU_DEP_1)
	v_lshlrev_b32_e32 v21, 2, v4
	v_xor_b32_e32 v4, 2, v9
	s_waitcnt lgkmcnt(1)
	v_cmp_lt_f32_e64 s0, v0, v2
	v_cndmask_b32_e64 v0, v0, v2, s0
	s_waitcnt lgkmcnt(0)
	v_cmp_lt_f32_e64 s0, v1, v3
	ds_bpermute_b32 v2, v21, v0
	v_cndmask_b32_e64 v1, v1, v3, s0
	v_cmp_gt_i32_e64 s0, 32, v4
	ds_bpermute_b32 v3, v21, v1
	v_cndmask_b32_e64 v4, v9, v4, s0
	s_delay_alu instid0(VALU_DEP_1) | instskip(SKIP_3) | instid1(VALU_DEP_1)
	v_lshlrev_b32_e32 v22, 2, v4
	v_xor_b32_e32 v4, 1, v9
	s_waitcnt lgkmcnt(1)
	v_cmp_lt_f32_e64 s0, v0, v2
	v_cndmask_b32_e64 v0, v0, v2, s0
	s_waitcnt lgkmcnt(0)
	v_cmp_lt_f32_e64 s0, v1, v3
	ds_bpermute_b32 v2, v22, v0
	v_cndmask_b32_e64 v1, v1, v3, s0
	v_cmp_gt_i32_e64 s0, 32, v4
	ds_bpermute_b32 v3, v22, v1
	v_cndmask_b32_e64 v4, v9, v4, s0
	s_delay_alu instid0(VALU_DEP_1) | instskip(SKIP_2) | instid1(VALU_DEP_1)
	v_lshlrev_b32_e32 v9, 2, v4
	s_waitcnt lgkmcnt(1)
	v_cmp_lt_f32_e64 s0, v0, v2
	v_cndmask_b32_e64 v0, v0, v2, s0
	s_waitcnt lgkmcnt(0)
	v_cmp_lt_f32_e64 s0, v1, v3
	s_delay_alu instid0(VALU_DEP_1)
	v_cndmask_b32_e64 v17, v1, v3, s0
	ds_bpermute_b32 v1, v9, v0
	ds_load_b128 v[2:5], v11
	ds_load_b128 v[13:16], v11 offset:16
	ds_bpermute_b32 v18, v9, v17
	s_waitcnt lgkmcnt(3)
	v_cmp_lt_f32_e64 s0, v0, v1
	s_delay_alu instid0(VALU_DEP_1) | instskip(SKIP_2) | instid1(VALU_DEP_2)
	v_cndmask_b32_e64 v1, v0, v1, s0
	s_waitcnt lgkmcnt(0)
	v_cmp_lt_f32_e64 s0, v17, v18
	v_sub_f32_e32 v2, v2, v1
	s_delay_alu instid0(VALU_DEP_2)
	v_cndmask_b32_e64 v0, v17, v18, s0
	v_sub_f32_e32 v3, v3, v1
	v_sub_f32_e32 v4, v4, v1
	;; [unrolled: 1-line block ×3, first 2 shown]
	v_cmp_ngt_f32_e64 s0, 0xc2ce8ed0, v2
	v_sub_f32_e32 v18, v14, v0
	v_sub_f32_e32 v17, v13, v0
	;; [unrolled: 1-line block ×3, first 2 shown]
	v_dual_sub_f32 v20, v16, v0 :: v_dual_mul_f32 v13, 0x3fb8aa3b, v2
	v_dual_mul_f32 v14, 0x3fb8aa3b, v3 :: v_dual_mul_f32 v15, 0x3fb8aa3b, v4
	v_mul_f32_e32 v24, 0x3fb8aa3b, v18
	v_mul_f32_e32 v16, 0x3fb8aa3b, v5
	s_delay_alu instid0(VALU_DEP_4)
	v_fma_f32 v27, 0x3fb8aa3b, v2, -v13
	v_rndne_f32_e32 v28, v13
	v_fma_f32 v29, 0x3fb8aa3b, v3, -v14
	v_rndne_f32_e32 v30, v14
	v_rndne_f32_e32 v38, v24
	v_mul_f32_e32 v25, 0x3fb8aa3b, v19
	v_rndne_f32_e32 v34, v16
	v_fma_f32 v37, 0x3fb8aa3b, v18, -v24
	v_dual_sub_f32 v14, v14, v30 :: v_dual_sub_f32 v13, v13, v28
	v_dual_fmac_f32 v29, 0x32a5705f, v3 :: v_dual_sub_f32 v24, v24, v38
	v_fmac_f32_e32 v27, 0x32a5705f, v2
	v_dual_mul_f32 v23, 0x3fb8aa3b, v17 :: v_dual_mul_f32 v26, 0x3fb8aa3b, v20
	v_fma_f32 v31, 0x3fb8aa3b, v4, -v15
	v_rndne_f32_e32 v32, v15
	v_fma_f32 v33, 0x3fb8aa3b, v5, -v16
	v_sub_f32_e32 v16, v16, v34
	v_dual_add_f32 v14, v14, v29 :: v_dual_add_f32 v13, v13, v27
	v_fma_f32 v41, 0x3fb8aa3b, v20, -v26
	v_rndne_f32_e32 v42, v26
	v_fmac_f32_e32 v31, 0x32a5705f, v4
	v_fmac_f32_e32 v33, 0x32a5705f, v5
	v_sub_f32_e32 v15, v15, v32
	v_exp_f32_e32 v13, v13
	v_fma_f32 v35, 0x3fb8aa3b, v17, -v23
	v_rndne_f32_e32 v36, v23
	v_add_f32_e32 v16, v16, v33
	v_cvt_i32_f32_e32 v28, v28
	v_dual_fmac_f32 v41, 0x32a5705f, v20 :: v_dual_sub_f32 v26, v26, v42
	v_add_f32_e32 v15, v15, v31
	v_exp_f32_e32 v14, v14
	v_cvt_i32_f32_e32 v30, v30
	v_fmac_f32_e32 v35, 0x32a5705f, v17
	v_dual_fmac_f32 v37, 0x32a5705f, v18 :: v_dual_add_f32 v26, v26, v41
	v_sub_f32_e32 v23, v23, v36
	v_exp_f32_e32 v15, v15
	v_ldexp_f32 v13, v13, v28
	s_delay_alu instid0(VALU_DEP_3)
	v_add_f32_e32 v24, v24, v37
	v_fma_f32 v39, 0x3fb8aa3b, v19, -v25
	v_rndne_f32_e32 v40, v25
	v_cvt_i32_f32_e32 v32, v32
	v_add_f32_e32 v23, v23, v35
	v_exp_f32_e32 v16, v16
	v_ldexp_f32 v14, v14, v30
	v_cndmask_b32_e64 v13, 0, v13, s0
	v_cmp_ngt_f32_e64 s0, 0xc2ce8ed0, v3
	v_cvt_i32_f32_e32 v34, v34
	v_fmac_f32_e32 v39, 0x32a5705f, v19
	v_sub_f32_e32 v25, v25, v40
	v_exp_f32_e32 v23, v23
	v_ldexp_f32 v15, v15, v32
	v_cndmask_b32_e64 v14, 0, v14, s0
	v_cmp_ngt_f32_e64 s0, 0xc2ce8ed0, v4
	v_cvt_i32_f32_e32 v36, v36
	v_add_f32_e32 v25, v25, v39
	v_exp_f32_e32 v24, v24
	v_ldexp_f32 v16, v16, v34
	v_cndmask_b32_e64 v15, 0, v15, s0
	v_cmp_ngt_f32_e64 s0, 0xc2ce8ed0, v5
	v_cvt_i32_f32_e32 v38, v38
	v_exp_f32_e32 v25, v25
	v_ldexp_f32 v23, v23, v36
	v_exp_f32_e32 v26, v26
	v_cndmask_b32_e64 v16, 0, v16, s0
	v_cmp_ngt_f32_e64 s0, 0xc2ce8ed0, v17
	v_cvt_i32_f32_e32 v27, v40
	v_ldexp_f32 v24, v24, v38
	v_cvt_i32_f32_e32 v29, v42
	s_delay_alu instid0(VALU_DEP_4)
	v_cndmask_b32_e64 v23, 0, v23, s0
	v_cmp_ngt_f32_e64 s0, 0xc2ce8ed0, v18
	v_ldexp_f32 v25, v25, v27
	s_delay_alu instid0(TRANS32_DEP_1) | instid1(VALU_DEP_4)
	v_ldexp_f32 v26, v26, v29
	s_delay_alu instid0(VALU_DEP_3) | instskip(SKIP_1) | instid1(VALU_DEP_1)
	v_cndmask_b32_e64 v24, 0, v24, s0
	v_cmp_ngt_f32_e64 s0, 0xc2ce8ed0, v19
	v_cndmask_b32_e64 v25, 0, v25, s0
	v_cmp_ngt_f32_e64 s0, 0xc2ce8ed0, v20
	s_delay_alu instid0(VALU_DEP_1) | instskip(SKIP_1) | instid1(VALU_DEP_1)
	v_cndmask_b32_e64 v26, 0, v26, s0
	v_cmp_nlt_f32_e64 s0, 0x42b17218, v2
	v_cndmask_b32_e64 v13, 0x7f800000, v13, s0
	v_cmp_nlt_f32_e64 s0, 0x42b17218, v3
	s_delay_alu instid0(VALU_DEP_1) | instskip(SKIP_1) | instid1(VALU_DEP_2)
	v_cndmask_b32_e64 v14, 0x7f800000, v14, s0
	v_cmp_nlt_f32_e64 s0, 0x42b17218, v17
	v_add_f32_e32 v2, v13, v14
	s_delay_alu instid0(VALU_DEP_2) | instskip(SKIP_1) | instid1(VALU_DEP_1)
	v_cndmask_b32_e64 v17, 0x7f800000, v23, s0
	v_cmp_nlt_f32_e64 s0, 0x42b17218, v18
	v_cndmask_b32_e64 v18, 0x7f800000, v24, s0
	v_cmp_nlt_f32_e64 s0, 0x42b17218, v4
	s_delay_alu instid0(VALU_DEP_2) | instskip(NEXT) | instid1(VALU_DEP_2)
	v_add_f32_e32 v3, v17, v18
	v_cndmask_b32_e64 v15, 0x7f800000, v15, s0
	v_cmp_nlt_f32_e64 s0, 0x42b17218, v19
	s_delay_alu instid0(VALU_DEP_2) | instskip(NEXT) | instid1(VALU_DEP_2)
	v_add_f32_e32 v2, v2, v15
	;; [unrolled: 4-line block ×4, first 2 shown]
	v_cndmask_b32_e64 v20, 0x7f800000, v26, s0
	ds_store_b128 v11, v[13:16]
	ds_store_b128 v11, v[17:20] offset:16
	v_add_f32_e32 v3, v3, v20
	ds_bpermute_b32 v4, v6, v2
	ds_bpermute_b32 v5, v6, v3
	s_waitcnt lgkmcnt(0)
	v_dual_add_f32 v2, v2, v4 :: v_dual_add_f32 v3, v3, v5
	ds_bpermute_b32 v4, v7, v2
	ds_bpermute_b32 v5, v7, v3
	s_waitcnt lgkmcnt(0)
	v_dual_add_f32 v2, v2, v4 :: v_dual_add_f32 v3, v3, v5
	ds_bpermute_b32 v4, v21, v2
	ds_bpermute_b32 v5, v21, v3
	s_waitcnt lgkmcnt(0)
	v_dual_add_f32 v2, v2, v4 :: v_dual_add_f32 v3, v3, v5
	ds_bpermute_b32 v4, v22, v2
	ds_bpermute_b32 v5, v22, v3
	s_waitcnt lgkmcnt(0)
	v_dual_add_f32 v2, v2, v4 :: v_dual_add_f32 v3, v3, v5
	ds_bpermute_b32 v4, v9, v2
	ds_bpermute_b32 v5, v9, v3
	s_and_saveexec_b32 s0, vcc_lo
	s_cbranch_execz .LBB18_43
; %bb.15:
	v_ashrrev_i32_e32 v9, 31, v8
	v_cmp_eq_f32_e32 vcc_lo, 0xc61c4000, v1
	s_waitcnt lgkmcnt(0)
	v_dual_add_f32 v15, v2, v4 :: v_dual_add_f32 v16, v3, v5
	v_cmp_gt_i32_e64 s0, s6, v12
	v_lshlrev_b64 v[6:7], 1, v[8:9]
	v_cndmask_b32_e64 v13, 1.0, 0, vcc_lo
	v_cmp_eq_f32_e32 vcc_lo, 0xc61c4000, v0
	v_mov_b32_e32 v3, 0
	s_ashr_i32 s7, s6, 31
	s_mov_b64 s[4:5], 0
	s_lshl_b64 s[2:3], s[6:7], 1
	v_cndmask_b32_e64 v14, 1.0, 0, vcc_lo
	v_add_co_u32 v0, vcc_lo, s8, v6
	v_add_co_ci_u32_e32 v1, vcc_lo, s9, v7, vcc_lo
	s_branch .LBB18_19
.LBB18_16:                              ;   in Loop: Header=BB18_19 Depth=1
	s_or_b32 exec_lo, exec_lo, s1
	s_delay_alu instid0(VALU_DEP_1)
	v_lshrrev_b32_e32 v8, 16, v8
.LBB18_17:                              ;   in Loop: Header=BB18_19 Depth=1
	s_or_b32 exec_lo, exec_lo, s7
	s_delay_alu instid0(VALU_DEP_1) | instskip(SKIP_1) | instid1(VALU_DEP_2)
	v_lshlrev_b32_e32 v2, 16, v8
	v_lshlrev_b32_e32 v6, 16, v6
	v_or_b32_e32 v2, v2, v7
	s_delay_alu instid0(VALU_DEP_2) | instskip(NEXT) | instid1(VALU_DEP_2)
	v_or_b32_e32 v4, v6, v4
	v_or_b32_e32 v5, v2, v5
	global_store_b64 v[0:1], v[4:5], off
.LBB18_18:                              ;   in Loop: Header=BB18_19 Depth=1
	s_or_b32 exec_lo, exec_lo, s6
	s_add_u32 s4, s4, 1
	v_add_co_u32 v0, s1, v0, s2
	v_cmp_eq_u32_e32 vcc_lo, s4, v10
	v_add_nc_u32_e32 v11, 16, v11
	v_add_co_ci_u32_e64 v1, s1, s3, v1, s1
	s_addc_u32 s5, s5, 0
	s_or_b32 s10, vcc_lo, s10
	s_delay_alu instid0(SALU_CYCLE_1)
	s_and_not1_b32 exec_lo, exec_lo, s10
	s_cbranch_execz .LBB18_43
.LBB18_19:                              ; =>This Inner Loop Header: Depth=1
	s_and_saveexec_b32 s6, s0
	s_cbranch_execz .LBB18_18
; %bb.20:                               ;   in Loop: Header=BB18_19 Depth=1
	s_cmp_eq_u32 s4, 1
	v_mov_b32_e32 v4, 0
	s_cselect_b32 vcc_lo, -1, 0
	v_dual_mov_b32 v5, 0 :: v_dual_cndmask_b32 v2, v13, v14
	v_cndmask_b32_e32 v12, v15, v16, vcc_lo
	s_delay_alu instid0(VALU_DEP_2) | instskip(NEXT) | instid1(VALU_DEP_1)
	v_cmp_neq_f32_e64 s1, 0, v2
	s_and_saveexec_b32 s7, s1
	s_cbranch_execz .LBB18_26
; %bb.21:                               ;   in Loop: Header=BB18_19 Depth=1
	ds_load_b32 v2, v11
	s_waitcnt lgkmcnt(0)
	v_div_scale_f32 v4, null, v12, v12, v2
	s_delay_alu instid0(VALU_DEP_1) | instskip(SKIP_2) | instid1(VALU_DEP_1)
	v_rcp_f32_e32 v5, v4
	s_waitcnt_depctr 0xfff
	v_fma_f32 v6, -v4, v5, 1.0
	v_fmac_f32_e32 v5, v6, v5
	v_div_scale_f32 v6, vcc_lo, v2, v12, v2
	s_delay_alu instid0(VALU_DEP_1) | instskip(NEXT) | instid1(VALU_DEP_1)
	v_mul_f32_e32 v7, v6, v5
	v_fma_f32 v8, -v4, v7, v6
	s_delay_alu instid0(VALU_DEP_1) | instskip(NEXT) | instid1(VALU_DEP_1)
	v_fmac_f32_e32 v7, v8, v5
	v_fma_f32 v4, -v4, v7, v6
	s_delay_alu instid0(VALU_DEP_1) | instskip(NEXT) | instid1(VALU_DEP_1)
	v_div_fmas_f32 v4, v4, v5, v7
	v_div_fixup_f32 v2, v4, v12, v2
	s_delay_alu instid0(VALU_DEP_1) | instskip(NEXT) | instid1(VALU_DEP_1)
	v_and_b32_e32 v4, 0x7f800000, v2
	v_cmp_ne_u32_e32 vcc_lo, 0x7f800000, v4
                                        ; implicit-def: $vgpr4
	s_and_saveexec_b32 s8, vcc_lo
	s_delay_alu instid0(SALU_CYCLE_1)
	s_xor_b32 s8, exec_lo, s8
; %bb.22:                               ;   in Loop: Header=BB18_19 Depth=1
	v_bfe_u32 v4, v2, 16, 1
	s_delay_alu instid0(VALU_DEP_1)
	v_add3_u32 v4, v2, v4, 0x7fff
                                        ; implicit-def: $vgpr2
; %bb.23:                               ;   in Loop: Header=BB18_19 Depth=1
	s_and_not1_saveexec_b32 s8, s8
; %bb.24:                               ;   in Loop: Header=BB18_19 Depth=1
	v_and_b32_e32 v4, 0xffff, v2
	v_or_b32_e32 v5, 0x10000, v2
	s_delay_alu instid0(VALU_DEP_2) | instskip(NEXT) | instid1(VALU_DEP_2)
	v_cmp_eq_u32_e32 vcc_lo, 0, v4
	v_cndmask_b32_e32 v4, v5, v2, vcc_lo
; %bb.25:                               ;   in Loop: Header=BB18_19 Depth=1
	s_or_b32 exec_lo, exec_lo, s8
	s_delay_alu instid0(VALU_DEP_1) | instskip(NEXT) | instid1(VALU_DEP_1)
	v_lshrrev_b32_e32 v2, 16, v4
	v_dual_mov_b32 v5, v3 :: v_dual_mov_b32 v4, v2
.LBB18_26:                              ;   in Loop: Header=BB18_19 Depth=1
	s_or_b32 exec_lo, exec_lo, s7
	v_mov_b32_e32 v6, 0
	v_mov_b32_e32 v7, 0
	s_and_saveexec_b32 s7, s1
	s_cbranch_execz .LBB18_32
; %bb.27:                               ;   in Loop: Header=BB18_19 Depth=1
	ds_load_b32 v2, v11 offset:4
	s_waitcnt lgkmcnt(0)
	v_div_scale_f32 v6, null, v12, v12, v2
	s_delay_alu instid0(VALU_DEP_1) | instskip(SKIP_2) | instid1(VALU_DEP_1)
	v_rcp_f32_e32 v7, v6
	s_waitcnt_depctr 0xfff
	v_fma_f32 v8, -v6, v7, 1.0
	v_fmac_f32_e32 v7, v8, v7
	v_div_scale_f32 v8, vcc_lo, v2, v12, v2
	s_delay_alu instid0(VALU_DEP_1) | instskip(NEXT) | instid1(VALU_DEP_1)
	v_mul_f32_e32 v9, v8, v7
	v_fma_f32 v17, -v6, v9, v8
	s_delay_alu instid0(VALU_DEP_1) | instskip(NEXT) | instid1(VALU_DEP_1)
	v_fmac_f32_e32 v9, v17, v7
	v_fma_f32 v6, -v6, v9, v8
	s_delay_alu instid0(VALU_DEP_1) | instskip(NEXT) | instid1(VALU_DEP_1)
	v_div_fmas_f32 v6, v6, v7, v9
	v_div_fixup_f32 v2, v6, v12, v2
	s_delay_alu instid0(VALU_DEP_1) | instskip(NEXT) | instid1(VALU_DEP_1)
	v_and_b32_e32 v6, 0x7f800000, v2
	v_cmp_ne_u32_e32 vcc_lo, 0x7f800000, v6
                                        ; implicit-def: $vgpr6
	s_and_saveexec_b32 s8, vcc_lo
	s_delay_alu instid0(SALU_CYCLE_1)
	s_xor_b32 s8, exec_lo, s8
; %bb.28:                               ;   in Loop: Header=BB18_19 Depth=1
	v_bfe_u32 v6, v2, 16, 1
	s_delay_alu instid0(VALU_DEP_1)
	v_add3_u32 v6, v2, v6, 0x7fff
                                        ; implicit-def: $vgpr2
; %bb.29:                               ;   in Loop: Header=BB18_19 Depth=1
	s_and_not1_saveexec_b32 s8, s8
; %bb.30:                               ;   in Loop: Header=BB18_19 Depth=1
	v_and_b32_e32 v6, 0xffff, v2
	v_or_b32_e32 v7, 0x10000, v2
	s_delay_alu instid0(VALU_DEP_2) | instskip(NEXT) | instid1(VALU_DEP_2)
	v_cmp_eq_u32_e32 vcc_lo, 0, v6
	v_cndmask_b32_e32 v6, v7, v2, vcc_lo
; %bb.31:                               ;   in Loop: Header=BB18_19 Depth=1
	s_or_b32 exec_lo, exec_lo, s8
	s_delay_alu instid0(VALU_DEP_1)
	v_lshrrev_b32_e32 v6, 16, v6
.LBB18_32:                              ;   in Loop: Header=BB18_19 Depth=1
	s_or_b32 exec_lo, exec_lo, s7
	v_mov_b32_e32 v7, 0
	v_mov_b32_e32 v8, 0
	s_and_saveexec_b32 s7, s1
	s_cbranch_execz .LBB18_38
; %bb.33:                               ;   in Loop: Header=BB18_19 Depth=1
	ds_load_b32 v2, v11 offset:8
	s_waitcnt lgkmcnt(0)
	v_div_scale_f32 v7, null, v12, v12, v2
	s_delay_alu instid0(VALU_DEP_1) | instskip(SKIP_2) | instid1(VALU_DEP_1)
	v_rcp_f32_e32 v8, v7
	s_waitcnt_depctr 0xfff
	v_fma_f32 v9, -v7, v8, 1.0
	v_fmac_f32_e32 v8, v9, v8
	v_div_scale_f32 v9, vcc_lo, v2, v12, v2
	s_delay_alu instid0(VALU_DEP_1) | instskip(NEXT) | instid1(VALU_DEP_1)
	v_mul_f32_e32 v17, v9, v8
	v_fma_f32 v18, -v7, v17, v9
	s_delay_alu instid0(VALU_DEP_1) | instskip(NEXT) | instid1(VALU_DEP_1)
	v_fmac_f32_e32 v17, v18, v8
	v_fma_f32 v7, -v7, v17, v9
	s_delay_alu instid0(VALU_DEP_1) | instskip(NEXT) | instid1(VALU_DEP_1)
	v_div_fmas_f32 v7, v7, v8, v17
	v_div_fixup_f32 v2, v7, v12, v2
	s_delay_alu instid0(VALU_DEP_1) | instskip(NEXT) | instid1(VALU_DEP_1)
	v_and_b32_e32 v7, 0x7f800000, v2
	v_cmp_ne_u32_e32 vcc_lo, 0x7f800000, v7
                                        ; implicit-def: $vgpr7
	s_and_saveexec_b32 s8, vcc_lo
	s_delay_alu instid0(SALU_CYCLE_1)
	s_xor_b32 s8, exec_lo, s8
; %bb.34:                               ;   in Loop: Header=BB18_19 Depth=1
	v_bfe_u32 v7, v2, 16, 1
	s_delay_alu instid0(VALU_DEP_1)
	v_add3_u32 v7, v2, v7, 0x7fff
                                        ; implicit-def: $vgpr2
; %bb.35:                               ;   in Loop: Header=BB18_19 Depth=1
	s_and_not1_saveexec_b32 s8, s8
; %bb.36:                               ;   in Loop: Header=BB18_19 Depth=1
	v_and_b32_e32 v7, 0xffff, v2
	v_or_b32_e32 v8, 0x10000, v2
	s_delay_alu instid0(VALU_DEP_2) | instskip(NEXT) | instid1(VALU_DEP_2)
	v_cmp_eq_u32_e32 vcc_lo, 0, v7
	v_cndmask_b32_e32 v7, v8, v2, vcc_lo
; %bb.37:                               ;   in Loop: Header=BB18_19 Depth=1
	s_or_b32 exec_lo, exec_lo, s8
	s_delay_alu instid0(VALU_DEP_1)
	v_lshrrev_b32_e32 v7, 16, v7
.LBB18_38:                              ;   in Loop: Header=BB18_19 Depth=1
	s_or_b32 exec_lo, exec_lo, s7
	v_mov_b32_e32 v8, 0
	v_mov_b32_e32 v9, 0
	s_and_saveexec_b32 s7, s1
	s_cbranch_execz .LBB18_17
; %bb.39:                               ;   in Loop: Header=BB18_19 Depth=1
	ds_load_b32 v2, v11 offset:12
	s_waitcnt lgkmcnt(0)
	v_div_scale_f32 v8, null, v12, v12, v2
	s_delay_alu instid0(VALU_DEP_1) | instskip(SKIP_2) | instid1(VALU_DEP_1)
	v_rcp_f32_e32 v9, v8
	s_waitcnt_depctr 0xfff
	v_fma_f32 v17, -v8, v9, 1.0
	v_fmac_f32_e32 v9, v17, v9
	v_div_scale_f32 v17, vcc_lo, v2, v12, v2
	s_delay_alu instid0(VALU_DEP_1) | instskip(NEXT) | instid1(VALU_DEP_1)
	v_mul_f32_e32 v18, v17, v9
	v_fma_f32 v19, -v8, v18, v17
	s_delay_alu instid0(VALU_DEP_1) | instskip(NEXT) | instid1(VALU_DEP_1)
	v_fmac_f32_e32 v18, v19, v9
	v_fma_f32 v8, -v8, v18, v17
	s_delay_alu instid0(VALU_DEP_1) | instskip(NEXT) | instid1(VALU_DEP_1)
	v_div_fmas_f32 v8, v8, v9, v18
	v_div_fixup_f32 v2, v8, v12, v2
	s_delay_alu instid0(VALU_DEP_1) | instskip(NEXT) | instid1(VALU_DEP_1)
	v_and_b32_e32 v8, 0x7f800000, v2
	v_cmp_ne_u32_e32 vcc_lo, 0x7f800000, v8
                                        ; implicit-def: $vgpr8
	s_and_saveexec_b32 s1, vcc_lo
	s_delay_alu instid0(SALU_CYCLE_1)
	s_xor_b32 s1, exec_lo, s1
; %bb.40:                               ;   in Loop: Header=BB18_19 Depth=1
	v_bfe_u32 v8, v2, 16, 1
	s_delay_alu instid0(VALU_DEP_1)
	v_add3_u32 v8, v2, v8, 0x7fff
                                        ; implicit-def: $vgpr2
; %bb.41:                               ;   in Loop: Header=BB18_19 Depth=1
	s_and_not1_saveexec_b32 s1, s1
	s_cbranch_execz .LBB18_16
; %bb.42:                               ;   in Loop: Header=BB18_19 Depth=1
	v_and_b32_e32 v8, 0xffff, v2
	v_or_b32_e32 v9, 0x10000, v2
	s_delay_alu instid0(VALU_DEP_2) | instskip(NEXT) | instid1(VALU_DEP_2)
	v_cmp_eq_u32_e32 vcc_lo, 0, v8
	v_cndmask_b32_e32 v8, v9, v2, vcc_lo
	s_branch .LBB18_16
.LBB18_43:
	s_nop 0
	s_sendmsg sendmsg(MSG_DEALLOC_VGPRS)
	s_endpgm
	.section	.rodata,"a",@progbits
	.p2align	6, 0x0
	.amdhsa_kernel _Z34scaled_masked_softmax_warp_forwardI14__hip_bfloat16S0_fLi7EEvPT0_PKT_PKhT1_iii
		.amdhsa_group_segment_fixed_size 32768
		.amdhsa_private_segment_fixed_size 0
		.amdhsa_kernarg_size 296
		.amdhsa_user_sgpr_count 13
		.amdhsa_user_sgpr_dispatch_ptr 1
		.amdhsa_user_sgpr_queue_ptr 0
		.amdhsa_user_sgpr_kernarg_segment_ptr 1
		.amdhsa_user_sgpr_dispatch_id 0
		.amdhsa_user_sgpr_private_segment_size 0
		.amdhsa_wavefront_size32 1
		.amdhsa_uses_dynamic_stack 0
		.amdhsa_enable_private_segment 0
		.amdhsa_system_sgpr_workgroup_id_x 1
		.amdhsa_system_sgpr_workgroup_id_y 1
		.amdhsa_system_sgpr_workgroup_id_z 1
		.amdhsa_system_sgpr_workgroup_info 0
		.amdhsa_system_vgpr_workitem_id 2
		.amdhsa_next_free_vgpr 43
		.amdhsa_next_free_sgpr 18
		.amdhsa_reserve_vcc 1
		.amdhsa_float_round_mode_32 0
		.amdhsa_float_round_mode_16_64 0
		.amdhsa_float_denorm_mode_32 3
		.amdhsa_float_denorm_mode_16_64 3
		.amdhsa_dx10_clamp 1
		.amdhsa_ieee_mode 1
		.amdhsa_fp16_overflow 0
		.amdhsa_workgroup_processor_mode 1
		.amdhsa_memory_ordered 1
		.amdhsa_forward_progress 0
		.amdhsa_shared_vgpr_count 0
		.amdhsa_exception_fp_ieee_invalid_op 0
		.amdhsa_exception_fp_denorm_src 0
		.amdhsa_exception_fp_ieee_div_zero 0
		.amdhsa_exception_fp_ieee_overflow 0
		.amdhsa_exception_fp_ieee_underflow 0
		.amdhsa_exception_fp_ieee_inexact 0
		.amdhsa_exception_int_div_zero 0
	.end_amdhsa_kernel
	.section	.text._Z34scaled_masked_softmax_warp_forwardI14__hip_bfloat16S0_fLi7EEvPT0_PKT_PKhT1_iii,"axG",@progbits,_Z34scaled_masked_softmax_warp_forwardI14__hip_bfloat16S0_fLi7EEvPT0_PKT_PKhT1_iii,comdat
.Lfunc_end18:
	.size	_Z34scaled_masked_softmax_warp_forwardI14__hip_bfloat16S0_fLi7EEvPT0_PKT_PKhT1_iii, .Lfunc_end18-_Z34scaled_masked_softmax_warp_forwardI14__hip_bfloat16S0_fLi7EEvPT0_PKT_PKhT1_iii
                                        ; -- End function
	.section	.AMDGPU.csdata,"",@progbits
; Kernel info:
; codeLenInByte = 3536
; NumSgprs: 20
; NumVgprs: 43
; ScratchSize: 0
; MemoryBound: 0
; FloatMode: 240
; IeeeMode: 1
; LDSByteSize: 32768 bytes/workgroup (compile time only)
; SGPRBlocks: 2
; VGPRBlocks: 5
; NumSGPRsForWavesPerEU: 20
; NumVGPRsForWavesPerEU: 43
; Occupancy: 16
; WaveLimiterHint : 0
; COMPUTE_PGM_RSRC2:SCRATCH_EN: 0
; COMPUTE_PGM_RSRC2:USER_SGPR: 13
; COMPUTE_PGM_RSRC2:TRAP_HANDLER: 0
; COMPUTE_PGM_RSRC2:TGID_X_EN: 1
; COMPUTE_PGM_RSRC2:TGID_Y_EN: 1
; COMPUTE_PGM_RSRC2:TGID_Z_EN: 1
; COMPUTE_PGM_RSRC2:TIDIG_COMP_CNT: 2
	.section	.text._Z34scaled_masked_softmax_warp_forwardI14__hip_bfloat16S0_fLi8EEvPT0_PKT_PKhT1_iii,"axG",@progbits,_Z34scaled_masked_softmax_warp_forwardI14__hip_bfloat16S0_fLi8EEvPT0_PKT_PKhT1_iii,comdat
	.protected	_Z34scaled_masked_softmax_warp_forwardI14__hip_bfloat16S0_fLi8EEvPT0_PKT_PKhT1_iii ; -- Begin function _Z34scaled_masked_softmax_warp_forwardI14__hip_bfloat16S0_fLi8EEvPT0_PKT_PKhT1_iii
	.globl	_Z34scaled_masked_softmax_warp_forwardI14__hip_bfloat16S0_fLi8EEvPT0_PKT_PKhT1_iii
	.p2align	8
	.type	_Z34scaled_masked_softmax_warp_forwardI14__hip_bfloat16S0_fLi8EEvPT0_PKT_PKhT1_iii,@function
_Z34scaled_masked_softmax_warp_forwardI14__hip_bfloat16S0_fLi8EEvPT0_PKT_PKhT1_iii: ; @_Z34scaled_masked_softmax_warp_forwardI14__hip_bfloat16S0_fLi8EEvPT0_PKT_PKhT1_iii
; %bb.0:
	s_clause 0x2
	s_load_b32 s8, s[0:1], 0x34
	s_load_b128 s[4:7], s[0:1], 0x18
	s_load_b64 s[2:3], s[0:1], 0x28
	s_waitcnt lgkmcnt(0)
	s_lshr_b32 s8, s8, 16
	s_cmp_eq_u32 s7, 1
	s_mov_b32 s7, s13
	s_cbranch_scc1 .LBB19_2
; %bb.1:
	s_mul_i32 s7, s2, s15
	s_delay_alu instid0(SALU_CYCLE_1)
	s_add_i32 s7, s7, s13
.LBB19_2:
	s_mul_i32 s3, s3, s15
	v_bfe_u32 v3, v0, 10, 10
	s_add_i32 s3, s3, s14
	s_and_b32 s12, 0xffff, s8
	s_mul_i32 s2, s2, s3
	v_and_b32_e32 v0, 0x3ff, v0
	s_add_i32 s2, s2, s13
                                        ; implicit-def: $vgpr12
                                        ; implicit-def: $vgpr11
                                        ; implicit-def: $vgpr10
                                        ; implicit-def: $vgpr9
                                        ; implicit-def: $vgpr14
                                        ; implicit-def: $vgpr13
                                        ; implicit-def: $vgpr8
                                        ; implicit-def: $vgpr7
	s_delay_alu instid0(SALU_CYCLE_1) | instskip(NEXT) | instid1(VALU_DEP_2)
	v_mad_u64_u32 v[4:5], null, s2, s12, v[3:4]
	v_lshlrev_b32_e32 v0, 2, v0
	s_clause 0x1
	s_load_b128 s[8:11], s[0:1], 0x0
	s_load_b64 s[2:3], s[0:1], 0x10
	s_delay_alu instid0(VALU_DEP_1) | instskip(SKIP_1) | instid1(VALU_DEP_2)
	v_mad_u64_u32 v[1:2], null, v4, s6, v[0:1]
	v_cmp_gt_i32_e32 vcc_lo, s5, v4
	v_ashrrev_i32_e32 v2, 31, v1
	s_delay_alu instid0(VALU_DEP_1)
	v_lshlrev_b64 v[1:2], 1, v[1:2]
	s_and_saveexec_b32 s5, vcc_lo
	s_cbranch_execz .LBB19_16
; %bb.3:
	v_mad_u64_u32 v[4:5], null, s7, s12, v[3:4]
	s_waitcnt lgkmcnt(0)
	s_delay_alu instid0(VALU_DEP_2) | instskip(SKIP_2) | instid1(VALU_DEP_4)
	v_add_co_u32 v3, s0, s10, v1
	v_dual_mov_b32 v12, 0xff800000 :: v_dual_mov_b32 v11, 0xff800000
	v_dual_mov_b32 v10, 0xff800000 :: v_dual_mov_b32 v9, 0xff800000
	v_mad_u64_u32 v[5:6], null, v4, s6, v[0:1]
	v_add_co_ci_u32_e64 v4, s0, s11, v2, s0
	s_delay_alu instid0(VALU_DEP_2) | instskip(SKIP_1) | instid1(VALU_DEP_1)
	v_ashrrev_i32_e32 v6, 31, v5
	v_add_co_u32 v5, s1, s2, v5
	v_add_co_ci_u32_e64 v6, s1, s3, v6, s1
	s_mov_b32 s3, exec_lo
	v_cmpx_gt_i32_e64 s6, v0
	s_cbranch_execz .LBB19_9
; %bb.4:
	global_load_b32 v11, v[5:6], off
	global_load_b64 v[7:8], v[3:4], off
	s_waitcnt vmcnt(1)
	v_lshrrev_b32_e32 v9, 16, v11
	s_delay_alu instid0(VALU_DEP_1) | instskip(SKIP_1) | instid1(VALU_DEP_2)
	v_and_b32_e32 v10, 0xff, v9
	v_mov_b32_e32 v9, 0xc61c4000
	v_cmp_ne_u16_e64 s0, 1, v10
	v_mov_b32_e32 v10, 0xc61c4000
	s_delay_alu instid0(VALU_DEP_2)
	s_and_saveexec_b32 s1, s0
	s_cbranch_execz .LBB19_6
; %bb.5:
	s_waitcnt vmcnt(0)
	v_alignbit_b32 v10, v8, v7, 16
	s_delay_alu instid0(VALU_DEP_1) | instskip(NEXT) | instid1(VALU_DEP_1)
	v_and_b32_e32 v10, 0xffff0000, v10
	v_mul_f32_e32 v10, s4, v10
.LBB19_6:
	s_or_b32 exec_lo, exec_lo, s1
	v_lshrrev_b32_e32 v12, 8, v11
	s_waitcnt vmcnt(0)
	v_lshlrev_b32_e32 v13, 16, v7
	v_and_b32_e32 v14, 0xff, v11
	v_and_b32_e32 v15, 0xffff0000, v7
	v_lshrrev_b32_e32 v16, 24, v11
	s_delay_alu instid0(VALU_DEP_4) | instskip(NEXT) | instid1(VALU_DEP_4)
	v_dual_mul_f32 v7, s4, v13 :: v_dual_and_b32 v12, 0xff, v12
	v_cmp_ne_u16_e64 s0, 1, v14
	s_delay_alu instid0(VALU_DEP_4) | instskip(SKIP_1) | instid1(VALU_DEP_3)
	v_mul_f32_e32 v11, s4, v15
	s_mov_b32 s7, exec_lo
	v_cmp_ne_u16_e64 s1, 1, v12
	v_cmpx_ne_u16_e32 1, v16
; %bb.7:
	v_and_b32_e32 v8, 0xffff0000, v8
	s_delay_alu instid0(VALU_DEP_1)
	v_mul_f32_e32 v9, s4, v8
; %bb.8:
	s_or_b32 exec_lo, exec_lo, s7
	v_cndmask_b32_e64 v12, 0xc61c4000, v7, s0
	v_cndmask_b32_e64 v11, 0xc61c4000, v11, s1
.LBB19_9:
	s_or_b32 exec_lo, exec_lo, s3
	v_add_nc_u32_e32 v7, 0x80, v0
	v_dual_mov_b32 v14, 0xff800000 :: v_dual_mov_b32 v13, 0xff800000
	v_mov_b32_e32 v8, 0xff800000
	s_delay_alu instid0(VALU_DEP_3) | instskip(SKIP_1) | instid1(VALU_DEP_2)
	v_cmp_gt_i32_e64 s0, s6, v7
	v_mov_b32_e32 v7, 0xff800000
	s_and_saveexec_b32 s3, s0
	s_cbranch_execz .LBB19_15
; %bb.10:
	global_load_b32 v5, v[5:6], off offset:128
	global_load_b64 v[3:4], v[3:4], off offset:256
	v_dual_mov_b32 v7, 0xc61c4000 :: v_dual_mov_b32 v8, 0xc61c4000
	s_mov_b32 s1, exec_lo
	s_waitcnt vmcnt(1)
	v_lshrrev_b32_e32 v6, 16, v5
	s_delay_alu instid0(VALU_DEP_1) | instskip(NEXT) | instid1(VALU_DEP_1)
	v_and_b32_e32 v6, 0xff, v6
	v_cmpx_ne_u16_e32 1, v6
	s_cbranch_execz .LBB19_12
; %bb.11:
	s_waitcnt vmcnt(0)
	v_alignbit_b32 v6, v4, v3, 16
	s_delay_alu instid0(VALU_DEP_1) | instskip(NEXT) | instid1(VALU_DEP_1)
	v_and_b32_e32 v6, 0xffff0000, v6
	v_mul_f32_e32 v8, s4, v6
.LBB19_12:
	s_or_b32 exec_lo, exec_lo, s1
	v_lshrrev_b32_e32 v6, 8, v5
	s_waitcnt vmcnt(0)
	v_lshlrev_b32_e32 v13, 16, v3
	v_and_b32_e32 v15, 0xffff0000, v3
	v_and_b32_e32 v14, 0xff, v5
	v_lshrrev_b32_e32 v16, 24, v5
	s_delay_alu instid0(VALU_DEP_4) | instskip(NEXT) | instid1(VALU_DEP_4)
	v_dual_mul_f32 v3, s4, v13 :: v_dual_and_b32 v6, 0xff, v6
	v_mul_f32_e32 v5, s4, v15
	s_delay_alu instid0(VALU_DEP_4) | instskip(NEXT) | instid1(VALU_DEP_4)
	v_cmp_ne_u16_e64 s0, 1, v14
	v_cmp_ne_u16_e64 s2, 1, v16
	s_delay_alu instid0(VALU_DEP_4) | instskip(NEXT) | instid1(VALU_DEP_2)
	v_cmp_ne_u16_e64 s1, 1, v6
	s_and_saveexec_b32 s7, s2
	s_delay_alu instid0(SALU_CYCLE_1)
	s_xor_b32 s2, exec_lo, s7
; %bb.13:
	v_and_b32_e32 v4, 0xffff0000, v4
	s_delay_alu instid0(VALU_DEP_1)
	v_mul_f32_e32 v7, s4, v4
; %bb.14:
	s_or_b32 exec_lo, exec_lo, s2
	v_cndmask_b32_e64 v14, 0xc61c4000, v3, s0
	v_cndmask_b32_e64 v13, 0xc61c4000, v5, s1
.LBB19_15:
	s_or_b32 exec_lo, exec_lo, s3
.LBB19_16:
	s_delay_alu instid0(SALU_CYCLE_1) | instskip(SKIP_2) | instid1(VALU_DEP_2)
	s_or_b32 exec_lo, exec_lo, s5
	v_cmp_gt_f32_e64 s0, v12, v11
	v_mbcnt_lo_u32_b32 v4, -1, 0
	v_cndmask_b32_e64 v3, v11, v12, s0
	s_delay_alu instid0(VALU_DEP_2) | instskip(SKIP_1) | instid1(VALU_DEP_3)
	v_xor_b32_e32 v5, 16, v4
	v_xor_b32_e32 v15, 8, v4
	v_cmp_gt_f32_e64 s0, v3, v10
	s_delay_alu instid0(VALU_DEP_1) | instskip(NEXT) | instid1(VALU_DEP_1)
	v_cndmask_b32_e64 v3, v10, v3, s0
	v_cmp_gt_f32_e64 s0, v3, v9
	s_delay_alu instid0(VALU_DEP_1) | instskip(NEXT) | instid1(VALU_DEP_1)
	v_cndmask_b32_e64 v3, v9, v3, s0
	;; [unrolled: 3-line block ×3, first 2 shown]
	v_cmp_gt_f32_e64 s0, v3, v13
	s_delay_alu instid0(VALU_DEP_1) | instskip(SKIP_1) | instid1(VALU_DEP_1)
	v_cndmask_b32_e64 v3, v13, v3, s0
	v_cmp_gt_i32_e64 s0, 32, v5
	v_cndmask_b32_e64 v5, v4, v5, s0
	s_delay_alu instid0(VALU_DEP_3) | instskip(NEXT) | instid1(VALU_DEP_2)
	v_cmp_gt_f32_e64 s0, v3, v8
	v_lshlrev_b32_e32 v6, 2, v5
	s_delay_alu instid0(VALU_DEP_2) | instskip(NEXT) | instid1(VALU_DEP_1)
	v_cndmask_b32_e64 v3, v8, v3, s0
	v_cmp_gt_f32_e64 s0, v3, v7
	s_delay_alu instid0(VALU_DEP_1) | instskip(SKIP_3) | instid1(VALU_DEP_1)
	v_cndmask_b32_e64 v3, v7, v3, s0
	v_cmp_gt_i32_e64 s0, 32, v15
	ds_bpermute_b32 v5, v6, v3
	v_cndmask_b32_e64 v15, v4, v15, s0
	v_lshlrev_b32_e32 v16, 2, v15
	v_xor_b32_e32 v15, 4, v4
	s_waitcnt lgkmcnt(0)
	v_cmp_lt_f32_e64 s0, v3, v5
	s_delay_alu instid0(VALU_DEP_1) | instskip(NEXT) | instid1(VALU_DEP_3)
	v_cndmask_b32_e64 v3, v3, v5, s0
	v_cmp_gt_i32_e64 s0, 32, v15
	ds_bpermute_b32 v5, v16, v3
	v_cndmask_b32_e64 v15, v4, v15, s0
	s_delay_alu instid0(VALU_DEP_1) | instskip(SKIP_3) | instid1(VALU_DEP_1)
	v_lshlrev_b32_e32 v17, 2, v15
	v_xor_b32_e32 v15, 2, v4
	s_waitcnt lgkmcnt(0)
	v_cmp_lt_f32_e64 s0, v3, v5
	v_cndmask_b32_e64 v3, v3, v5, s0
	s_delay_alu instid0(VALU_DEP_3) | instskip(SKIP_2) | instid1(VALU_DEP_1)
	v_cmp_gt_i32_e64 s0, 32, v15
	ds_bpermute_b32 v5, v17, v3
	v_cndmask_b32_e64 v15, v4, v15, s0
	v_lshlrev_b32_e32 v18, 2, v15
	v_xor_b32_e32 v15, 1, v4
	s_waitcnt lgkmcnt(0)
	v_cmp_lt_f32_e64 s0, v3, v5
	s_delay_alu instid0(VALU_DEP_1) | instskip(NEXT) | instid1(VALU_DEP_3)
	v_cndmask_b32_e64 v3, v3, v5, s0
	v_cmp_gt_i32_e64 s0, 32, v15
	ds_bpermute_b32 v5, v18, v3
	v_cndmask_b32_e64 v4, v4, v15, s0
	s_delay_alu instid0(VALU_DEP_1) | instskip(SKIP_2) | instid1(VALU_DEP_1)
	v_lshlrev_b32_e32 v4, 2, v4
	s_waitcnt lgkmcnt(0)
	v_cmp_lt_f32_e64 s0, v3, v5
	v_cndmask_b32_e64 v3, v3, v5, s0
	ds_bpermute_b32 v5, v4, v3
	s_waitcnt lgkmcnt(0)
	v_cmp_lt_f32_e64 s0, v3, v5
	s_delay_alu instid0(VALU_DEP_1) | instskip(NEXT) | instid1(VALU_DEP_1)
	v_cndmask_b32_e64 v3, v3, v5, s0
	v_sub_f32_e32 v11, v11, v3
	v_sub_f32_e32 v5, v12, v3
	s_delay_alu instid0(VALU_DEP_1) | instskip(SKIP_1) | instid1(VALU_DEP_2)
	v_dual_sub_f32 v20, v7, v3 :: v_dual_mul_f32 v7, 0x3fb8aa3b, v5
	v_cmp_ngt_f32_e64 s0, 0xc2ce8ed0, v5
	v_fma_f32 v25, 0x3fb8aa3b, v5, -v7
	v_sub_f32_e32 v12, v14, v3
	v_rndne_f32_e32 v26, v7
	s_delay_alu instid0(VALU_DEP_3) | instskip(NEXT) | instid1(VALU_DEP_3)
	v_dual_fmac_f32 v25, 0x32a5705f, v5 :: v_dual_sub_f32 v10, v10, v3
	v_mul_f32_e32 v21, 0x3fb8aa3b, v12
	s_delay_alu instid0(VALU_DEP_3) | instskip(SKIP_1) | instid1(VALU_DEP_4)
	v_sub_f32_e32 v7, v7, v26
	v_cvt_i32_f32_e32 v26, v26
	v_mul_f32_e32 v14, 0x3fb8aa3b, v10
	s_delay_alu instid0(VALU_DEP_4) | instskip(SKIP_2) | instid1(VALU_DEP_4)
	v_fma_f32 v33, 0x3fb8aa3b, v12, -v21
	v_rndne_f32_e32 v34, v21
	v_add_f32_e32 v7, v7, v25
	v_fma_f32 v29, 0x3fb8aa3b, v10, -v14
	v_rndne_f32_e32 v30, v14
	v_sub_f32_e32 v19, v8, v3
	v_mul_f32_e32 v8, 0x3fb8aa3b, v11
	v_exp_f32_e32 v7, v7
	v_fmac_f32_e32 v29, 0x32a5705f, v10
	v_dual_sub_f32 v13, v13, v3 :: v_dual_mul_f32 v24, 0x3fb8aa3b, v20
	v_sub_f32_e32 v9, v9, v3
	v_fma_f32 v27, 0x3fb8aa3b, v11, -v8
	v_rndne_f32_e32 v28, v8
	s_delay_alu instid0(VALU_DEP_4) | instskip(NEXT) | instid1(VALU_DEP_4)
	v_mul_f32_e32 v22, 0x3fb8aa3b, v13
	v_dual_sub_f32 v14, v14, v30 :: v_dual_mul_f32 v15, 0x3fb8aa3b, v9
	s_delay_alu instid0(VALU_DEP_3) | instskip(NEXT) | instid1(VALU_DEP_3)
	v_dual_mul_f32 v23, 0x3fb8aa3b, v19 :: v_dual_sub_f32 v8, v8, v28
	v_rndne_f32_e32 v36, v22
	v_fmac_f32_e32 v27, 0x32a5705f, v11
	s_delay_alu instid0(VALU_DEP_4) | instskip(SKIP_3) | instid1(VALU_DEP_4)
	v_rndne_f32_e32 v32, v15
	v_fma_f32 v31, 0x3fb8aa3b, v9, -v15
	v_fma_f32 v35, 0x3fb8aa3b, v13, -v22
	v_sub_f32_e32 v22, v22, v36
	v_dual_add_f32 v8, v8, v27 :: v_dual_sub_f32 v15, v15, v32
	v_dual_fmac_f32 v33, 0x32a5705f, v12 :: v_dual_add_f32 v14, v14, v29
	v_cvt_i32_f32_e32 v28, v28
	s_delay_alu instid0(VALU_DEP_3)
	v_exp_f32_e32 v8, v8
	v_ldexp_f32 v7, v7, v26
	v_fma_f32 v39, 0x3fb8aa3b, v20, -v24
	v_exp_f32_e32 v14, v14
	v_rndne_f32_e32 v40, v24
	v_cvt_i32_f32_e32 v30, v30
	v_fmac_f32_e32 v31, 0x32a5705f, v9
	v_cndmask_b32_e64 v7, 0, v7, s0
	v_cmp_ngt_f32_e64 s0, 0xc2ce8ed0, v11
	v_sub_f32_e32 v24, v24, v40
	v_ldexp_f32 v8, v8, v28
	v_fmac_f32_e32 v39, 0x32a5705f, v20
	v_add_f32_e32 v15, v15, v31
	v_ldexp_f32 v14, v14, v30
	v_fmac_f32_e32 v35, 0x32a5705f, v13
	v_cndmask_b32_e64 v8, 0, v8, s0
	v_add_f32_e32 v24, v24, v39
	v_cmp_ngt_f32_e64 s0, 0xc2ce8ed0, v10
	s_delay_alu instid0(VALU_DEP_4) | instskip(SKIP_2) | instid1(VALU_DEP_3)
	v_dual_sub_f32 v21, v21, v34 :: v_dual_add_f32 v22, v22, v35
	v_exp_f32_e32 v15, v15
	v_cvt_i32_f32_e32 v32, v32
	v_cndmask_b32_e64 v14, 0, v14, s0
	v_cmp_nlt_f32_e64 s0, 0x42b17218, v5
	v_add_f32_e32 v21, v21, v33
	v_fma_f32 v37, 0x3fb8aa3b, v19, -v23
	v_rndne_f32_e32 v38, v23
	v_cvt_i32_f32_e32 v34, v34
	v_cndmask_b32_e64 v5, 0x7f800000, v7, s0
	v_cmp_nlt_f32_e64 s0, 0x42b17218, v11
	v_exp_f32_e32 v21, v21
	v_ldexp_f32 v15, v15, v32
	v_fmac_f32_e32 v37, 0x32a5705f, v19
	v_exp_f32_e32 v22, v22
	v_cndmask_b32_e64 v7, 0x7f800000, v8, s0
	v_cmp_ngt_f32_e64 s0, 0xc2ce8ed0, v9
	v_sub_f32_e32 v23, v23, v38
	v_cvt_i32_f32_e32 v36, v36
	v_cvt_i32_f32_e32 v25, v38
	v_exp_f32_e32 v24, v24
	v_cndmask_b32_e64 v11, 0, v15, s0
	v_cmp_nlt_f32_e64 s0, 0x42b17218, v10
	v_add_f32_e32 v10, v5, v7
	v_ldexp_f32 v21, v21, v34
	v_add_f32_e32 v23, v23, v37
	v_ldexp_f32 v22, v22, v36
	v_cndmask_b32_e64 v8, 0x7f800000, v14, s0
	v_cmp_ngt_f32_e64 s0, 0xc2ce8ed0, v12
	v_cvt_i32_f32_e32 v27, v40
	v_exp_f32_e32 v23, v23
	s_delay_alu instid0(VALU_DEP_2) | instskip(SKIP_2) | instid1(VALU_DEP_2)
	v_cndmask_b32_e64 v14, 0, v21, s0
	v_cmp_nlt_f32_e64 s0, 0x42b17218, v9
	v_add_f32_e32 v9, v10, v8
	v_cndmask_b32_e64 v15, 0x7f800000, v11, s0
	v_cmp_ngt_f32_e64 s0, 0xc2ce8ed0, v13
	s_waitcnt_depctr 0xfff
	v_ldexp_f32 v23, v23, v25
	v_add_f32_e32 v9, v9, v15
	v_cndmask_b32_e64 v10, 0, v22, s0
	v_cmp_nlt_f32_e64 s0, 0x42b17218, v12
	s_delay_alu instid0(VALU_DEP_1) | instskip(SKIP_1) | instid1(VALU_DEP_2)
	v_cndmask_b32_e64 v14, 0x7f800000, v14, s0
	v_cmp_ngt_f32_e64 s0, 0xc2ce8ed0, v19
	v_add_f32_e32 v9, v9, v14
	s_delay_alu instid0(VALU_DEP_2) | instskip(SKIP_1) | instid1(VALU_DEP_1)
	v_cndmask_b32_e64 v11, 0, v23, s0
	v_cmp_nlt_f32_e64 s0, 0x42b17218, v13
	v_cndmask_b32_e64 v13, 0x7f800000, v10, s0
	v_cmp_nlt_f32_e64 s0, 0x42b17218, v19
	v_ldexp_f32 v10, v24, v27
	s_delay_alu instid0(VALU_DEP_3) | instskip(NEXT) | instid1(VALU_DEP_3)
	v_add_f32_e32 v9, v9, v13
	v_cndmask_b32_e64 v12, 0x7f800000, v11, s0
	v_cmp_ngt_f32_e64 s0, 0xc2ce8ed0, v20
	s_delay_alu instid0(VALU_DEP_2) | instskip(NEXT) | instid1(VALU_DEP_2)
	v_add_f32_e32 v9, v9, v12
	v_cndmask_b32_e64 v10, 0, v10, s0
	v_cmp_nlt_f32_e64 s0, 0x42b17218, v20
	s_delay_alu instid0(VALU_DEP_1) | instskip(SKIP_1) | instid1(VALU_DEP_2)
	v_cndmask_b32_e64 v10, 0x7f800000, v10, s0
	v_cmp_gt_i32_e64 s0, s6, v0
	v_add_f32_e32 v9, v9, v10
	s_delay_alu instid0(VALU_DEP_2)
	s_and_b32 s0, vcc_lo, s0
	ds_bpermute_b32 v6, v6, v9
	s_waitcnt lgkmcnt(0)
	v_add_f32_e32 v6, v9, v6
	ds_bpermute_b32 v9, v16, v6
	s_waitcnt lgkmcnt(0)
	v_add_f32_e32 v6, v6, v9
	;; [unrolled: 3-line block ×4, first 2 shown]
	ds_bpermute_b32 v9, v4, v6
	s_and_saveexec_b32 s1, s0
	s_cbranch_execz .LBB19_67
; %bb.17:
	v_cmp_neq_f32_e64 s0, 0xc61c4000, v3
	v_mov_b32_e32 v3, 0
	s_waitcnt lgkmcnt(0)
	v_dual_mov_b32 v4, 0 :: v_dual_add_f32 v11, v6, v9
	s_delay_alu instid0(VALU_DEP_3)
	s_and_saveexec_b32 s1, s0
	s_cbranch_execz .LBB19_23
; %bb.18:
	s_delay_alu instid0(VALU_DEP_1) | instskip(NEXT) | instid1(VALU_DEP_1)
	v_div_scale_f32 v3, null, v11, v11, v5
	v_rcp_f32_e32 v4, v3
	s_waitcnt_depctr 0xfff
	v_fma_f32 v6, -v3, v4, 1.0
	s_delay_alu instid0(VALU_DEP_1) | instskip(SKIP_1) | instid1(VALU_DEP_1)
	v_fmac_f32_e32 v4, v6, v4
	v_div_scale_f32 v6, vcc_lo, v5, v11, v5
	v_mul_f32_e32 v9, v6, v4
	s_delay_alu instid0(VALU_DEP_1) | instskip(NEXT) | instid1(VALU_DEP_1)
	v_fma_f32 v16, -v3, v9, v6
	v_fmac_f32_e32 v9, v16, v4
	s_delay_alu instid0(VALU_DEP_1) | instskip(NEXT) | instid1(VALU_DEP_1)
	v_fma_f32 v3, -v3, v9, v6
	v_div_fmas_f32 v3, v3, v4, v9
	s_delay_alu instid0(VALU_DEP_1) | instskip(NEXT) | instid1(VALU_DEP_1)
	v_div_fixup_f32 v3, v3, v11, v5
	v_and_b32_e32 v4, 0x7f800000, v3
	s_delay_alu instid0(VALU_DEP_1) | instskip(SKIP_1) | instid1(SALU_CYCLE_1)
	v_cmp_ne_u32_e32 vcc_lo, 0x7f800000, v4
                                        ; implicit-def: $vgpr4
	s_and_saveexec_b32 s2, vcc_lo
	s_xor_b32 s2, exec_lo, s2
; %bb.19:
	v_bfe_u32 v4, v3, 16, 1
	s_delay_alu instid0(VALU_DEP_1)
	v_add3_u32 v4, v3, v4, 0x7fff
                                        ; implicit-def: $vgpr3
; %bb.20:
	s_and_not1_saveexec_b32 s2, s2
; %bb.21:
	v_and_b32_e32 v4, 0xffff, v3
	v_or_b32_e32 v5, 0x10000, v3
	s_delay_alu instid0(VALU_DEP_2) | instskip(NEXT) | instid1(VALU_DEP_2)
	v_cmp_eq_u32_e32 vcc_lo, 0, v4
	v_cndmask_b32_e32 v4, v5, v3, vcc_lo
; %bb.22:
	s_or_b32 exec_lo, exec_lo, s2
	s_delay_alu instid0(VALU_DEP_1)
	v_lshrrev_b32_e32 v3, 16, v4
	v_mov_b32_e32 v4, 0
.LBB19_23:
	s_or_b32 exec_lo, exec_lo, s1
	v_mov_b32_e32 v5, 0
	v_mov_b32_e32 v6, 0
	s_and_saveexec_b32 s1, s0
	s_cbranch_execz .LBB19_29
; %bb.24:
	v_div_scale_f32 v5, null, v11, v11, v7
	s_delay_alu instid0(VALU_DEP_1) | instskip(SKIP_2) | instid1(VALU_DEP_1)
	v_rcp_f32_e32 v6, v5
	s_waitcnt_depctr 0xfff
	v_fma_f32 v9, -v5, v6, 1.0
	v_fmac_f32_e32 v6, v9, v6
	v_div_scale_f32 v9, vcc_lo, v7, v11, v7
	s_delay_alu instid0(VALU_DEP_1) | instskip(NEXT) | instid1(VALU_DEP_1)
	v_mul_f32_e32 v16, v9, v6
	v_fma_f32 v17, -v5, v16, v9
	s_delay_alu instid0(VALU_DEP_1) | instskip(NEXT) | instid1(VALU_DEP_1)
	v_fmac_f32_e32 v16, v17, v6
	v_fma_f32 v5, -v5, v16, v9
	s_delay_alu instid0(VALU_DEP_1) | instskip(NEXT) | instid1(VALU_DEP_1)
	v_div_fmas_f32 v5, v5, v6, v16
	v_div_fixup_f32 v5, v5, v11, v7
	s_delay_alu instid0(VALU_DEP_1) | instskip(NEXT) | instid1(VALU_DEP_1)
	v_and_b32_e32 v6, 0x7f800000, v5
	v_cmp_ne_u32_e32 vcc_lo, 0x7f800000, v6
                                        ; implicit-def: $vgpr6
	s_and_saveexec_b32 s2, vcc_lo
	s_delay_alu instid0(SALU_CYCLE_1)
	s_xor_b32 s2, exec_lo, s2
; %bb.25:
	v_bfe_u32 v6, v5, 16, 1
	s_delay_alu instid0(VALU_DEP_1)
	v_add3_u32 v6, v5, v6, 0x7fff
                                        ; implicit-def: $vgpr5
; %bb.26:
	s_and_not1_saveexec_b32 s2, s2
; %bb.27:
	v_and_b32_e32 v6, 0xffff, v5
	v_or_b32_e32 v7, 0x10000, v5
	s_delay_alu instid0(VALU_DEP_2) | instskip(NEXT) | instid1(VALU_DEP_2)
	v_cmp_eq_u32_e32 vcc_lo, 0, v6
	v_cndmask_b32_e32 v6, v7, v5, vcc_lo
; %bb.28:
	s_or_b32 exec_lo, exec_lo, s2
	s_delay_alu instid0(VALU_DEP_1)
	v_lshrrev_b32_e32 v5, 16, v6
.LBB19_29:
	s_or_b32 exec_lo, exec_lo, s1
	v_mov_b32_e32 v6, 0
	v_mov_b32_e32 v7, 0
	s_and_saveexec_b32 s1, s0
	s_cbranch_execz .LBB19_35
; %bb.30:
	v_div_scale_f32 v6, null, v11, v11, v8
	s_delay_alu instid0(VALU_DEP_1) | instskip(SKIP_2) | instid1(VALU_DEP_1)
	v_rcp_f32_e32 v7, v6
	s_waitcnt_depctr 0xfff
	v_fma_f32 v9, -v6, v7, 1.0
	v_fmac_f32_e32 v7, v9, v7
	v_div_scale_f32 v9, vcc_lo, v8, v11, v8
	s_delay_alu instid0(VALU_DEP_1) | instskip(NEXT) | instid1(VALU_DEP_1)
	v_mul_f32_e32 v16, v9, v7
	v_fma_f32 v17, -v6, v16, v9
	s_delay_alu instid0(VALU_DEP_1) | instskip(NEXT) | instid1(VALU_DEP_1)
	v_fmac_f32_e32 v16, v17, v7
	v_fma_f32 v6, -v6, v16, v9
	s_delay_alu instid0(VALU_DEP_1) | instskip(NEXT) | instid1(VALU_DEP_1)
	v_div_fmas_f32 v6, v6, v7, v16
	v_div_fixup_f32 v6, v6, v11, v8
	s_delay_alu instid0(VALU_DEP_1) | instskip(NEXT) | instid1(VALU_DEP_1)
	v_and_b32_e32 v7, 0x7f800000, v6
	v_cmp_ne_u32_e32 vcc_lo, 0x7f800000, v7
                                        ; implicit-def: $vgpr7
	s_and_saveexec_b32 s2, vcc_lo
	s_delay_alu instid0(SALU_CYCLE_1)
	s_xor_b32 s2, exec_lo, s2
; %bb.31:
	v_bfe_u32 v7, v6, 16, 1
	s_delay_alu instid0(VALU_DEP_1)
	v_add3_u32 v7, v6, v7, 0x7fff
                                        ; implicit-def: $vgpr6
; %bb.32:
	s_and_not1_saveexec_b32 s2, s2
; %bb.33:
	v_and_b32_e32 v7, 0xffff, v6
	v_or_b32_e32 v8, 0x10000, v6
	s_delay_alu instid0(VALU_DEP_2) | instskip(NEXT) | instid1(VALU_DEP_2)
	v_cmp_eq_u32_e32 vcc_lo, 0, v7
	v_cndmask_b32_e32 v7, v8, v6, vcc_lo
; %bb.34:
	s_or_b32 exec_lo, exec_lo, s2
	s_delay_alu instid0(VALU_DEP_1)
	v_lshrrev_b32_e32 v7, 16, v7
	v_mov_b32_e32 v6, 0
.LBB19_35:
	s_or_b32 exec_lo, exec_lo, s1
	v_mov_b32_e32 v8, 0
	v_mov_b32_e32 v9, 0
	s_and_saveexec_b32 s1, s0
	s_cbranch_execz .LBB19_41
; %bb.36:
	v_div_scale_f32 v8, null, v11, v11, v15
	s_delay_alu instid0(VALU_DEP_1) | instskip(SKIP_2) | instid1(VALU_DEP_1)
	v_rcp_f32_e32 v9, v8
	s_waitcnt_depctr 0xfff
	v_fma_f32 v16, -v8, v9, 1.0
	v_fmac_f32_e32 v9, v16, v9
	v_div_scale_f32 v16, vcc_lo, v15, v11, v15
	s_delay_alu instid0(VALU_DEP_1) | instskip(NEXT) | instid1(VALU_DEP_1)
	v_mul_f32_e32 v17, v16, v9
	v_fma_f32 v18, -v8, v17, v16
	s_delay_alu instid0(VALU_DEP_1) | instskip(NEXT) | instid1(VALU_DEP_1)
	v_fmac_f32_e32 v17, v18, v9
	v_fma_f32 v8, -v8, v17, v16
	s_delay_alu instid0(VALU_DEP_1) | instskip(NEXT) | instid1(VALU_DEP_1)
	v_div_fmas_f32 v8, v8, v9, v17
	v_div_fixup_f32 v8, v8, v11, v15
	s_delay_alu instid0(VALU_DEP_1) | instskip(NEXT) | instid1(VALU_DEP_1)
	v_and_b32_e32 v9, 0x7f800000, v8
	v_cmp_ne_u32_e32 vcc_lo, 0x7f800000, v9
                                        ; implicit-def: $vgpr9
	s_and_saveexec_b32 s2, vcc_lo
	s_delay_alu instid0(SALU_CYCLE_1)
	s_xor_b32 s2, exec_lo, s2
; %bb.37:
	v_bfe_u32 v9, v8, 16, 1
	s_delay_alu instid0(VALU_DEP_1)
	v_add3_u32 v9, v8, v9, 0x7fff
                                        ; implicit-def: $vgpr8
; %bb.38:
	s_and_not1_saveexec_b32 s2, s2
; %bb.39:
	v_and_b32_e32 v9, 0xffff, v8
	v_or_b32_e32 v15, 0x10000, v8
	s_delay_alu instid0(VALU_DEP_2) | instskip(NEXT) | instid1(VALU_DEP_2)
	v_cmp_eq_u32_e32 vcc_lo, 0, v9
	v_cndmask_b32_e32 v9, v15, v8, vcc_lo
; %bb.40:
	s_or_b32 exec_lo, exec_lo, s2
	s_delay_alu instid0(VALU_DEP_1)
	v_dual_mov_b32 v8, 0 :: v_dual_and_b32 v9, 0xffff0000, v9
.LBB19_41:
	s_or_b32 exec_lo, exec_lo, s1
	s_delay_alu instid0(VALU_DEP_1) | instskip(NEXT) | instid1(VALU_DEP_2)
	v_or_b32_e32 v6, v8, v6
	v_or_b32_e32 v7, v9, v7
	v_add_nc_u32_e32 v8, 0x80, v0
	v_add_co_u32 v0, vcc_lo, s8, v1
	s_delay_alu instid0(VALU_DEP_4) | instskip(SKIP_3) | instid1(VALU_DEP_4)
	v_lshl_or_b32 v5, v5, 16, v6
	v_add_co_ci_u32_e32 v1, vcc_lo, s9, v2, vcc_lo
	v_or_b32_e32 v4, v7, v4
	v_cmp_gt_u32_e32 vcc_lo, s6, v8
	v_or_b32_e32 v3, v5, v3
	global_store_b64 v[0:1], v[3:4], off
	s_and_b32 exec_lo, exec_lo, vcc_lo
	s_cbranch_execz .LBB19_67
; %bb.42:
	v_mov_b32_e32 v2, 0
	v_mov_b32_e32 v3, 0
	s_and_saveexec_b32 s1, s0
	s_cbranch_execz .LBB19_48
; %bb.43:
	v_div_scale_f32 v2, null, v11, v11, v14
	s_delay_alu instid0(VALU_DEP_1) | instskip(SKIP_2) | instid1(VALU_DEP_1)
	v_rcp_f32_e32 v3, v2
	s_waitcnt_depctr 0xfff
	v_fma_f32 v4, -v2, v3, 1.0
	v_fmac_f32_e32 v3, v4, v3
	v_div_scale_f32 v4, vcc_lo, v14, v11, v14
	s_delay_alu instid0(VALU_DEP_1) | instskip(NEXT) | instid1(VALU_DEP_1)
	v_mul_f32_e32 v5, v4, v3
	v_fma_f32 v6, -v2, v5, v4
	s_delay_alu instid0(VALU_DEP_1) | instskip(NEXT) | instid1(VALU_DEP_1)
	v_fmac_f32_e32 v5, v6, v3
	v_fma_f32 v2, -v2, v5, v4
	s_delay_alu instid0(VALU_DEP_1) | instskip(NEXT) | instid1(VALU_DEP_1)
	v_div_fmas_f32 v2, v2, v3, v5
	v_div_fixup_f32 v2, v2, v11, v14
	s_delay_alu instid0(VALU_DEP_1) | instskip(NEXT) | instid1(VALU_DEP_1)
	v_and_b32_e32 v3, 0x7f800000, v2
	v_cmp_ne_u32_e32 vcc_lo, 0x7f800000, v3
                                        ; implicit-def: $vgpr3
	s_and_saveexec_b32 s2, vcc_lo
	s_delay_alu instid0(SALU_CYCLE_1)
	s_xor_b32 s2, exec_lo, s2
; %bb.44:
	v_bfe_u32 v3, v2, 16, 1
	s_delay_alu instid0(VALU_DEP_1)
	v_add3_u32 v3, v2, v3, 0x7fff
                                        ; implicit-def: $vgpr2
; %bb.45:
	s_and_not1_saveexec_b32 s2, s2
; %bb.46:
	v_and_b32_e32 v3, 0xffff, v2
	v_or_b32_e32 v4, 0x10000, v2
	s_delay_alu instid0(VALU_DEP_2) | instskip(NEXT) | instid1(VALU_DEP_2)
	v_cmp_eq_u32_e32 vcc_lo, 0, v3
	v_cndmask_b32_e32 v3, v4, v2, vcc_lo
; %bb.47:
	s_or_b32 exec_lo, exec_lo, s2
	s_delay_alu instid0(VALU_DEP_1)
	v_lshrrev_b32_e32 v2, 16, v3
	v_mov_b32_e32 v3, 0
.LBB19_48:
	s_or_b32 exec_lo, exec_lo, s1
	v_mov_b32_e32 v4, 0
	v_mov_b32_e32 v5, 0
	s_and_saveexec_b32 s1, s0
	s_cbranch_execz .LBB19_54
; %bb.49:
	v_div_scale_f32 v4, null, v11, v11, v13
	s_delay_alu instid0(VALU_DEP_1) | instskip(SKIP_2) | instid1(VALU_DEP_1)
	v_rcp_f32_e32 v5, v4
	s_waitcnt_depctr 0xfff
	v_fma_f32 v6, -v4, v5, 1.0
	v_fmac_f32_e32 v5, v6, v5
	v_div_scale_f32 v6, vcc_lo, v13, v11, v13
	s_delay_alu instid0(VALU_DEP_1) | instskip(NEXT) | instid1(VALU_DEP_1)
	v_mul_f32_e32 v7, v6, v5
	v_fma_f32 v8, -v4, v7, v6
	s_delay_alu instid0(VALU_DEP_1) | instskip(NEXT) | instid1(VALU_DEP_1)
	v_fmac_f32_e32 v7, v8, v5
	v_fma_f32 v4, -v4, v7, v6
	s_delay_alu instid0(VALU_DEP_1) | instskip(NEXT) | instid1(VALU_DEP_1)
	v_div_fmas_f32 v4, v4, v5, v7
	v_div_fixup_f32 v4, v4, v11, v13
	s_delay_alu instid0(VALU_DEP_1) | instskip(NEXT) | instid1(VALU_DEP_1)
	v_and_b32_e32 v5, 0x7f800000, v4
	v_cmp_ne_u32_e32 vcc_lo, 0x7f800000, v5
                                        ; implicit-def: $vgpr5
	s_and_saveexec_b32 s2, vcc_lo
	s_delay_alu instid0(SALU_CYCLE_1)
	s_xor_b32 s2, exec_lo, s2
; %bb.50:
	v_bfe_u32 v5, v4, 16, 1
	s_delay_alu instid0(VALU_DEP_1)
	v_add3_u32 v5, v4, v5, 0x7fff
                                        ; implicit-def: $vgpr4
; %bb.51:
	s_and_not1_saveexec_b32 s2, s2
; %bb.52:
	v_and_b32_e32 v5, 0xffff, v4
	v_or_b32_e32 v6, 0x10000, v4
	s_delay_alu instid0(VALU_DEP_2) | instskip(NEXT) | instid1(VALU_DEP_2)
	v_cmp_eq_u32_e32 vcc_lo, 0, v5
	v_cndmask_b32_e32 v5, v6, v4, vcc_lo
; %bb.53:
	s_or_b32 exec_lo, exec_lo, s2
	s_delay_alu instid0(VALU_DEP_1)
	v_dual_mov_b32 v5, 0 :: v_dual_and_b32 v4, 0xffff0000, v5
.LBB19_54:
	s_or_b32 exec_lo, exec_lo, s1
	v_mov_b32_e32 v6, 0
	v_mov_b32_e32 v7, 0
	s_and_saveexec_b32 s1, s0
	s_cbranch_execz .LBB19_60
; %bb.55:
	v_div_scale_f32 v6, null, v11, v11, v12
	s_delay_alu instid0(VALU_DEP_1) | instskip(SKIP_2) | instid1(VALU_DEP_1)
	v_rcp_f32_e32 v7, v6
	s_waitcnt_depctr 0xfff
	v_fma_f32 v8, -v6, v7, 1.0
	v_fmac_f32_e32 v7, v8, v7
	v_div_scale_f32 v8, vcc_lo, v12, v11, v12
	s_delay_alu instid0(VALU_DEP_1) | instskip(NEXT) | instid1(VALU_DEP_1)
	v_mul_f32_e32 v9, v8, v7
	v_fma_f32 v13, -v6, v9, v8
	s_delay_alu instid0(VALU_DEP_1) | instskip(NEXT) | instid1(VALU_DEP_1)
	v_fmac_f32_e32 v9, v13, v7
	v_fma_f32 v6, -v6, v9, v8
	s_delay_alu instid0(VALU_DEP_1) | instskip(NEXT) | instid1(VALU_DEP_1)
	v_div_fmas_f32 v6, v6, v7, v9
	v_div_fixup_f32 v6, v6, v11, v12
	s_delay_alu instid0(VALU_DEP_1) | instskip(NEXT) | instid1(VALU_DEP_1)
	v_and_b32_e32 v7, 0x7f800000, v6
	v_cmp_ne_u32_e32 vcc_lo, 0x7f800000, v7
                                        ; implicit-def: $vgpr7
	s_and_saveexec_b32 s2, vcc_lo
	s_delay_alu instid0(SALU_CYCLE_1)
	s_xor_b32 s2, exec_lo, s2
; %bb.56:
	v_bfe_u32 v7, v6, 16, 1
	s_delay_alu instid0(VALU_DEP_1)
	v_add3_u32 v7, v6, v7, 0x7fff
                                        ; implicit-def: $vgpr6
; %bb.57:
	s_and_not1_saveexec_b32 s2, s2
; %bb.58:
	v_and_b32_e32 v7, 0xffff, v6
	v_or_b32_e32 v8, 0x10000, v6
	s_delay_alu instid0(VALU_DEP_2) | instskip(NEXT) | instid1(VALU_DEP_2)
	v_cmp_eq_u32_e32 vcc_lo, 0, v7
	v_cndmask_b32_e32 v7, v8, v6, vcc_lo
; %bb.59:
	s_or_b32 exec_lo, exec_lo, s2
	s_delay_alu instid0(VALU_DEP_1)
	v_lshrrev_b32_e32 v7, 16, v7
	v_mov_b32_e32 v6, 0
.LBB19_60:
	s_or_b32 exec_lo, exec_lo, s1
	v_mov_b32_e32 v8, 0
	v_mov_b32_e32 v9, 0
	s_and_saveexec_b32 s1, s0
	s_cbranch_execz .LBB19_66
; %bb.61:
	v_div_scale_f32 v8, null, v11, v11, v10
	s_delay_alu instid0(VALU_DEP_1) | instskip(SKIP_2) | instid1(VALU_DEP_1)
	v_rcp_f32_e32 v9, v8
	s_waitcnt_depctr 0xfff
	v_fma_f32 v12, -v8, v9, 1.0
	v_fmac_f32_e32 v9, v12, v9
	v_div_scale_f32 v12, vcc_lo, v10, v11, v10
	s_delay_alu instid0(VALU_DEP_1) | instskip(NEXT) | instid1(VALU_DEP_1)
	v_mul_f32_e32 v13, v12, v9
	v_fma_f32 v14, -v8, v13, v12
	s_delay_alu instid0(VALU_DEP_1) | instskip(NEXT) | instid1(VALU_DEP_1)
	v_fmac_f32_e32 v13, v14, v9
	v_fma_f32 v8, -v8, v13, v12
	s_delay_alu instid0(VALU_DEP_1) | instskip(NEXT) | instid1(VALU_DEP_1)
	v_div_fmas_f32 v8, v8, v9, v13
	v_div_fixup_f32 v8, v8, v11, v10
	s_delay_alu instid0(VALU_DEP_1) | instskip(NEXT) | instid1(VALU_DEP_1)
	v_and_b32_e32 v9, 0x7f800000, v8
	v_cmp_ne_u32_e32 vcc_lo, 0x7f800000, v9
                                        ; implicit-def: $vgpr9
	s_and_saveexec_b32 s0, vcc_lo
	s_delay_alu instid0(SALU_CYCLE_1)
	s_xor_b32 s0, exec_lo, s0
; %bb.62:
	v_bfe_u32 v9, v8, 16, 1
	s_delay_alu instid0(VALU_DEP_1)
	v_add3_u32 v9, v8, v9, 0x7fff
                                        ; implicit-def: $vgpr8
; %bb.63:
	s_and_not1_saveexec_b32 s0, s0
; %bb.64:
	v_and_b32_e32 v9, 0xffff, v8
	v_or_b32_e32 v10, 0x10000, v8
	s_delay_alu instid0(VALU_DEP_2) | instskip(NEXT) | instid1(VALU_DEP_2)
	v_cmp_eq_u32_e32 vcc_lo, 0, v9
	v_cndmask_b32_e32 v9, v10, v8, vcc_lo
; %bb.65:
	s_or_b32 exec_lo, exec_lo, s0
	s_delay_alu instid0(VALU_DEP_1)
	v_dual_mov_b32 v8, 0 :: v_dual_and_b32 v9, 0xffff0000, v9
.LBB19_66:
	s_or_b32 exec_lo, exec_lo, s1
	s_delay_alu instid0(VALU_DEP_1) | instskip(NEXT) | instid1(VALU_DEP_2)
	v_or_b32_e32 v7, v9, v7
	v_or_b32_e32 v6, v8, v6
	s_delay_alu instid0(VALU_DEP_2) | instskip(NEXT) | instid1(VALU_DEP_2)
	v_or3_b32 v3, v7, v5, v3
	v_or3_b32 v2, v6, v4, v2
	global_store_b64 v[0:1], v[2:3], off offset:256
.LBB19_67:
	s_nop 0
	s_sendmsg sendmsg(MSG_DEALLOC_VGPRS)
	s_endpgm
	.section	.rodata,"a",@progbits
	.p2align	6, 0x0
	.amdhsa_kernel _Z34scaled_masked_softmax_warp_forwardI14__hip_bfloat16S0_fLi8EEvPT0_PKT_PKhT1_iii
		.amdhsa_group_segment_fixed_size 0
		.amdhsa_private_segment_fixed_size 0
		.amdhsa_kernarg_size 296
		.amdhsa_user_sgpr_count 13
		.amdhsa_user_sgpr_dispatch_ptr 0
		.amdhsa_user_sgpr_queue_ptr 0
		.amdhsa_user_sgpr_kernarg_segment_ptr 1
		.amdhsa_user_sgpr_dispatch_id 0
		.amdhsa_user_sgpr_private_segment_size 0
		.amdhsa_wavefront_size32 1
		.amdhsa_uses_dynamic_stack 0
		.amdhsa_enable_private_segment 0
		.amdhsa_system_sgpr_workgroup_id_x 1
		.amdhsa_system_sgpr_workgroup_id_y 1
		.amdhsa_system_sgpr_workgroup_id_z 1
		.amdhsa_system_sgpr_workgroup_info 0
		.amdhsa_system_vgpr_workitem_id 1
		.amdhsa_next_free_vgpr 41
		.amdhsa_next_free_sgpr 16
		.amdhsa_reserve_vcc 1
		.amdhsa_float_round_mode_32 0
		.amdhsa_float_round_mode_16_64 0
		.amdhsa_float_denorm_mode_32 3
		.amdhsa_float_denorm_mode_16_64 3
		.amdhsa_dx10_clamp 1
		.amdhsa_ieee_mode 1
		.amdhsa_fp16_overflow 0
		.amdhsa_workgroup_processor_mode 1
		.amdhsa_memory_ordered 1
		.amdhsa_forward_progress 0
		.amdhsa_shared_vgpr_count 0
		.amdhsa_exception_fp_ieee_invalid_op 0
		.amdhsa_exception_fp_denorm_src 0
		.amdhsa_exception_fp_ieee_div_zero 0
		.amdhsa_exception_fp_ieee_overflow 0
		.amdhsa_exception_fp_ieee_underflow 0
		.amdhsa_exception_fp_ieee_inexact 0
		.amdhsa_exception_int_div_zero 0
	.end_amdhsa_kernel
	.section	.text._Z34scaled_masked_softmax_warp_forwardI14__hip_bfloat16S0_fLi8EEvPT0_PKT_PKhT1_iii,"axG",@progbits,_Z34scaled_masked_softmax_warp_forwardI14__hip_bfloat16S0_fLi8EEvPT0_PKT_PKhT1_iii,comdat
.Lfunc_end19:
	.size	_Z34scaled_masked_softmax_warp_forwardI14__hip_bfloat16S0_fLi8EEvPT0_PKT_PKhT1_iii, .Lfunc_end19-_Z34scaled_masked_softmax_warp_forwardI14__hip_bfloat16S0_fLi8EEvPT0_PKT_PKhT1_iii
                                        ; -- End function
	.section	.AMDGPU.csdata,"",@progbits
; Kernel info:
; codeLenInByte = 4152
; NumSgprs: 18
; NumVgprs: 41
; ScratchSize: 0
; MemoryBound: 0
; FloatMode: 240
; IeeeMode: 1
; LDSByteSize: 0 bytes/workgroup (compile time only)
; SGPRBlocks: 2
; VGPRBlocks: 5
; NumSGPRsForWavesPerEU: 18
; NumVGPRsForWavesPerEU: 41
; Occupancy: 16
; WaveLimiterHint : 0
; COMPUTE_PGM_RSRC2:SCRATCH_EN: 0
; COMPUTE_PGM_RSRC2:USER_SGPR: 13
; COMPUTE_PGM_RSRC2:TRAP_HANDLER: 0
; COMPUTE_PGM_RSRC2:TGID_X_EN: 1
; COMPUTE_PGM_RSRC2:TGID_Y_EN: 1
; COMPUTE_PGM_RSRC2:TGID_Z_EN: 1
; COMPUTE_PGM_RSRC2:TIDIG_COMP_CNT: 1
	.section	.text._Z34scaled_masked_softmax_warp_forwardI14__hip_bfloat16S0_fLi9EEvPT0_PKT_PKhT1_iii,"axG",@progbits,_Z34scaled_masked_softmax_warp_forwardI14__hip_bfloat16S0_fLi9EEvPT0_PKT_PKhT1_iii,comdat
	.protected	_Z34scaled_masked_softmax_warp_forwardI14__hip_bfloat16S0_fLi9EEvPT0_PKT_PKhT1_iii ; -- Begin function _Z34scaled_masked_softmax_warp_forwardI14__hip_bfloat16S0_fLi9EEvPT0_PKT_PKhT1_iii
	.globl	_Z34scaled_masked_softmax_warp_forwardI14__hip_bfloat16S0_fLi9EEvPT0_PKT_PKhT1_iii
	.p2align	8
	.type	_Z34scaled_masked_softmax_warp_forwardI14__hip_bfloat16S0_fLi9EEvPT0_PKT_PKhT1_iii,@function
_Z34scaled_masked_softmax_warp_forwardI14__hip_bfloat16S0_fLi9EEvPT0_PKT_PKhT1_iii: ; @_Z34scaled_masked_softmax_warp_forwardI14__hip_bfloat16S0_fLi9EEvPT0_PKT_PKhT1_iii
; %bb.0:
	s_clause 0x2
	s_load_b32 s8, s[0:1], 0x34
	s_load_b128 s[4:7], s[0:1], 0x18
	s_load_b64 s[2:3], s[0:1], 0x28
	s_waitcnt lgkmcnt(0)
	s_lshr_b32 s8, s8, 16
	s_cmp_eq_u32 s7, 1
	s_mov_b32 s7, s13
	s_cbranch_scc1 .LBB20_2
; %bb.1:
	s_mul_i32 s7, s2, s15
	s_delay_alu instid0(SALU_CYCLE_1)
	s_add_i32 s7, s7, s13
.LBB20_2:
	s_mul_i32 s3, s3, s15
	v_bfe_u32 v3, v0, 10, 10
	s_add_i32 s3, s3, s14
	s_and_b32 s12, 0xffff, s8
	s_mul_i32 s2, s2, s3
	v_and_b32_e32 v0, 0x3ff, v0
	s_add_i32 s2, s2, s13
                                        ; implicit-def: $vgpr17
                                        ; implicit-def: $vgpr16
                                        ; implicit-def: $vgpr10
                                        ; implicit-def: $vgpr9
                                        ; implicit-def: $vgpr20
                                        ; implicit-def: $vgpr19
                                        ; implicit-def: $vgpr12
                                        ; implicit-def: $vgpr11
                                        ; implicit-def: $vgpr22
                                        ; implicit-def: $vgpr21
                                        ; implicit-def: $vgpr14
                                        ; implicit-def: $vgpr13
                                        ; implicit-def: $vgpr24
                                        ; implicit-def: $vgpr23
                                        ; implicit-def: $vgpr18
                                        ; implicit-def: $vgpr15
	s_delay_alu instid0(SALU_CYCLE_1) | instskip(NEXT) | instid1(VALU_DEP_2)
	v_mad_u64_u32 v[4:5], null, s2, s12, v[3:4]
	v_lshlrev_b32_e32 v0, 2, v0
	s_clause 0x1
	s_load_b128 s[8:11], s[0:1], 0x0
	s_load_b64 s[2:3], s[0:1], 0x10
	s_delay_alu instid0(VALU_DEP_1) | instskip(SKIP_1) | instid1(VALU_DEP_2)
	v_mad_u64_u32 v[1:2], null, v4, s6, v[0:1]
	v_cmp_gt_i32_e32 vcc_lo, s5, v4
	v_ashrrev_i32_e32 v2, 31, v1
	s_delay_alu instid0(VALU_DEP_1)
	v_lshlrev_b64 v[1:2], 1, v[1:2]
	s_and_saveexec_b32 s5, vcc_lo
	s_cbranch_execz .LBB20_28
; %bb.3:
	v_mad_u64_u32 v[4:5], null, s7, s12, v[3:4]
	s_waitcnt lgkmcnt(0)
	s_delay_alu instid0(VALU_DEP_2) | instskip(SKIP_2) | instid1(VALU_DEP_4)
	v_add_co_u32 v3, s0, s10, v1
	v_dual_mov_b32 v17, 0xff800000 :: v_dual_mov_b32 v16, 0xff800000
	v_dual_mov_b32 v10, 0xff800000 :: v_dual_mov_b32 v9, 0xff800000
	v_mad_u64_u32 v[5:6], null, v4, s6, v[0:1]
	v_add_co_ci_u32_e64 v4, s0, s11, v2, s0
	s_delay_alu instid0(VALU_DEP_2) | instskip(SKIP_1) | instid1(VALU_DEP_1)
	v_ashrrev_i32_e32 v6, 31, v5
	v_add_co_u32 v5, s1, s2, v5
	v_add_co_ci_u32_e64 v6, s1, s3, v6, s1
	s_mov_b32 s3, exec_lo
	v_cmpx_gt_i32_e64 s6, v0
	s_cbranch_execz .LBB20_9
; %bb.4:
	global_load_b32 v11, v[5:6], off
	global_load_b64 v[7:8], v[3:4], off
	s_waitcnt vmcnt(1)
	v_lshrrev_b32_e32 v9, 16, v11
	s_delay_alu instid0(VALU_DEP_1) | instskip(SKIP_1) | instid1(VALU_DEP_2)
	v_and_b32_e32 v10, 0xff, v9
	v_mov_b32_e32 v9, 0xc61c4000
	v_cmp_ne_u16_e64 s0, 1, v10
	v_mov_b32_e32 v10, 0xc61c4000
	s_delay_alu instid0(VALU_DEP_2)
	s_and_saveexec_b32 s1, s0
	s_cbranch_execz .LBB20_6
; %bb.5:
	s_waitcnt vmcnt(0)
	v_alignbit_b32 v10, v8, v7, 16
	s_delay_alu instid0(VALU_DEP_1) | instskip(NEXT) | instid1(VALU_DEP_1)
	v_and_b32_e32 v10, 0xffff0000, v10
	v_mul_f32_e32 v10, s4, v10
.LBB20_6:
	s_or_b32 exec_lo, exec_lo, s1
	v_lshrrev_b32_e32 v12, 8, v11
	s_waitcnt vmcnt(0)
	v_lshlrev_b32_e32 v13, 16, v7
	v_and_b32_e32 v14, 0xff, v11
	v_and_b32_e32 v15, 0xffff0000, v7
	v_lshrrev_b32_e32 v16, 24, v11
	s_delay_alu instid0(VALU_DEP_4) | instskip(NEXT) | instid1(VALU_DEP_4)
	v_dual_mul_f32 v7, s4, v13 :: v_dual_and_b32 v12, 0xff, v12
	v_cmp_ne_u16_e64 s0, 1, v14
	s_delay_alu instid0(VALU_DEP_4) | instskip(SKIP_1) | instid1(VALU_DEP_3)
	v_mul_f32_e32 v11, s4, v15
	s_mov_b32 s7, exec_lo
	v_cmp_ne_u16_e64 s1, 1, v12
	v_cmpx_ne_u16_e32 1, v16
; %bb.7:
	v_and_b32_e32 v8, 0xffff0000, v8
	s_delay_alu instid0(VALU_DEP_1)
	v_mul_f32_e32 v9, s4, v8
; %bb.8:
	s_or_b32 exec_lo, exec_lo, s7
	v_cndmask_b32_e64 v17, 0xc61c4000, v7, s0
	v_cndmask_b32_e64 v16, 0xc61c4000, v11, s1
.LBB20_9:
	s_or_b32 exec_lo, exec_lo, s3
	v_add_nc_u32_e32 v7, 0x80, v0
	v_dual_mov_b32 v20, 0xff800000 :: v_dual_mov_b32 v19, 0xff800000
	v_dual_mov_b32 v12, 0xff800000 :: v_dual_mov_b32 v11, 0xff800000
	s_mov_b32 s3, exec_lo
	s_delay_alu instid0(VALU_DEP_3)
	v_cmpx_gt_i32_e64 s6, v7
	s_cbranch_execz .LBB20_15
; %bb.10:
	global_load_b32 v13, v[5:6], off offset:128
	global_load_b64 v[7:8], v[3:4], off offset:256
	s_waitcnt vmcnt(1)
	v_lshrrev_b32_e32 v11, 16, v13
	s_delay_alu instid0(VALU_DEP_1) | instskip(SKIP_1) | instid1(VALU_DEP_2)
	v_and_b32_e32 v12, 0xff, v11
	v_mov_b32_e32 v11, 0xc61c4000
	v_cmp_ne_u16_e64 s0, 1, v12
	v_mov_b32_e32 v12, 0xc61c4000
	s_delay_alu instid0(VALU_DEP_2)
	s_and_saveexec_b32 s1, s0
	s_cbranch_execz .LBB20_12
; %bb.11:
	s_waitcnt vmcnt(0)
	v_alignbit_b32 v12, v8, v7, 16
	s_delay_alu instid0(VALU_DEP_1) | instskip(NEXT) | instid1(VALU_DEP_1)
	v_and_b32_e32 v12, 0xffff0000, v12
	v_mul_f32_e32 v12, s4, v12
.LBB20_12:
	s_or_b32 exec_lo, exec_lo, s1
	v_lshrrev_b32_e32 v14, 8, v13
	s_waitcnt vmcnt(0)
	v_lshlrev_b32_e32 v15, 16, v7
	v_and_b32_e32 v18, 0xff, v13
	v_and_b32_e32 v19, 0xffff0000, v7
	v_lshrrev_b32_e32 v20, 24, v13
	s_delay_alu instid0(VALU_DEP_4) | instskip(NEXT) | instid1(VALU_DEP_4)
	v_dual_mul_f32 v7, s4, v15 :: v_dual_and_b32 v14, 0xff, v14
	v_cmp_ne_u16_e64 s0, 1, v18
	s_delay_alu instid0(VALU_DEP_4) | instskip(SKIP_1) | instid1(VALU_DEP_3)
	v_mul_f32_e32 v13, s4, v19
	s_mov_b32 s7, exec_lo
	v_cmp_ne_u16_e64 s1, 1, v14
	v_cmpx_ne_u16_e32 1, v20
; %bb.13:
	v_and_b32_e32 v8, 0xffff0000, v8
	s_delay_alu instid0(VALU_DEP_1)
	v_mul_f32_e32 v11, s4, v8
; %bb.14:
	s_or_b32 exec_lo, exec_lo, s7
	v_cndmask_b32_e64 v20, 0xc61c4000, v7, s0
	v_cndmask_b32_e64 v19, 0xc61c4000, v13, s1
.LBB20_15:
	s_or_b32 exec_lo, exec_lo, s3
	v_add_nc_u32_e32 v7, 0x100, v0
	v_dual_mov_b32 v22, 0xff800000 :: v_dual_mov_b32 v21, 0xff800000
	v_dual_mov_b32 v14, 0xff800000 :: v_dual_mov_b32 v13, 0xff800000
	s_mov_b32 s3, exec_lo
	s_delay_alu instid0(VALU_DEP_3)
	v_cmpx_gt_i32_e64 s6, v7
	s_cbranch_execz .LBB20_21
; %bb.16:
	global_load_b32 v15, v[5:6], off offset:256
	global_load_b64 v[7:8], v[3:4], off offset:512
	s_waitcnt vmcnt(1)
	v_lshrrev_b32_e32 v13, 16, v15
	s_delay_alu instid0(VALU_DEP_1) | instskip(SKIP_1) | instid1(VALU_DEP_2)
	v_and_b32_e32 v14, 0xff, v13
	v_mov_b32_e32 v13, 0xc61c4000
	v_cmp_ne_u16_e64 s0, 1, v14
	v_mov_b32_e32 v14, 0xc61c4000
	s_delay_alu instid0(VALU_DEP_2)
	s_and_saveexec_b32 s1, s0
	s_cbranch_execz .LBB20_18
; %bb.17:
	s_waitcnt vmcnt(0)
	v_alignbit_b32 v14, v8, v7, 16
	s_delay_alu instid0(VALU_DEP_1) | instskip(NEXT) | instid1(VALU_DEP_1)
	v_and_b32_e32 v14, 0xffff0000, v14
	v_mul_f32_e32 v14, s4, v14
.LBB20_18:
	s_or_b32 exec_lo, exec_lo, s1
	v_lshrrev_b32_e32 v18, 8, v15
	s_waitcnt vmcnt(0)
	v_lshlrev_b32_e32 v21, 16, v7
	v_and_b32_e32 v22, 0xff, v15
	v_and_b32_e32 v23, 0xffff0000, v7
	v_lshrrev_b32_e32 v24, 24, v15
	s_delay_alu instid0(VALU_DEP_4) | instskip(NEXT) | instid1(VALU_DEP_4)
	v_dual_mul_f32 v7, s4, v21 :: v_dual_and_b32 v18, 0xff, v18
	v_cmp_ne_u16_e64 s0, 1, v22
	s_delay_alu instid0(VALU_DEP_4) | instskip(SKIP_1) | instid1(VALU_DEP_3)
	v_mul_f32_e32 v15, s4, v23
	s_mov_b32 s7, exec_lo
	v_cmp_ne_u16_e64 s1, 1, v18
	v_cmpx_ne_u16_e32 1, v24
; %bb.19:
	v_and_b32_e32 v8, 0xffff0000, v8
	s_delay_alu instid0(VALU_DEP_1)
	v_mul_f32_e32 v13, s4, v8
; %bb.20:
	s_or_b32 exec_lo, exec_lo, s7
	v_cndmask_b32_e64 v22, 0xc61c4000, v7, s0
	v_cndmask_b32_e64 v21, 0xc61c4000, v15, s1
.LBB20_21:
	s_or_b32 exec_lo, exec_lo, s3
	v_add_nc_u32_e32 v7, 0x180, v0
	v_dual_mov_b32 v24, 0xff800000 :: v_dual_mov_b32 v23, 0xff800000
	v_dual_mov_b32 v18, 0xff800000 :: v_dual_mov_b32 v15, 0xff800000
	s_mov_b32 s3, exec_lo
	s_delay_alu instid0(VALU_DEP_3)
	v_cmpx_gt_i32_e64 s6, v7
	s_cbranch_execz .LBB20_27
; %bb.22:
	global_load_b32 v5, v[5:6], off offset:384
	global_load_b64 v[3:4], v[3:4], off offset:768
	v_dual_mov_b32 v15, 0xc61c4000 :: v_dual_mov_b32 v18, 0xc61c4000
	s_mov_b32 s1, exec_lo
	s_waitcnt vmcnt(1)
	v_lshrrev_b32_e32 v6, 16, v5
	s_delay_alu instid0(VALU_DEP_1) | instskip(NEXT) | instid1(VALU_DEP_1)
	v_and_b32_e32 v6, 0xff, v6
	v_cmpx_ne_u16_e32 1, v6
	s_cbranch_execz .LBB20_24
; %bb.23:
	s_waitcnt vmcnt(0)
	v_alignbit_b32 v6, v4, v3, 16
	s_delay_alu instid0(VALU_DEP_1) | instskip(NEXT) | instid1(VALU_DEP_1)
	v_and_b32_e32 v6, 0xffff0000, v6
	v_mul_f32_e32 v18, s4, v6
.LBB20_24:
	s_or_b32 exec_lo, exec_lo, s1
	v_lshrrev_b32_e32 v6, 8, v5
	s_waitcnt vmcnt(0)
	v_lshlrev_b32_e32 v7, 16, v3
	v_and_b32_e32 v8, 0xff, v5
	v_and_b32_e32 v23, 0xffff0000, v3
	v_lshrrev_b32_e32 v24, 24, v5
	s_delay_alu instid0(VALU_DEP_4) | instskip(NEXT) | instid1(VALU_DEP_4)
	v_dual_mul_f32 v3, s4, v7 :: v_dual_and_b32 v6, 0xff, v6
	v_cmp_ne_u16_e64 s0, 1, v8
	s_delay_alu instid0(VALU_DEP_4) | instskip(NEXT) | instid1(VALU_DEP_4)
	v_mul_f32_e32 v5, s4, v23
	v_cmp_ne_u16_e64 s2, 1, v24
	s_delay_alu instid0(VALU_DEP_4) | instskip(NEXT) | instid1(VALU_DEP_2)
	v_cmp_ne_u16_e64 s1, 1, v6
	s_and_saveexec_b32 s7, s2
	s_delay_alu instid0(SALU_CYCLE_1)
	s_xor_b32 s2, exec_lo, s7
; %bb.25:
	v_and_b32_e32 v4, 0xffff0000, v4
	s_delay_alu instid0(VALU_DEP_1)
	v_mul_f32_e32 v15, s4, v4
; %bb.26:
	s_or_b32 exec_lo, exec_lo, s2
	v_cndmask_b32_e64 v24, 0xc61c4000, v3, s0
	v_cndmask_b32_e64 v23, 0xc61c4000, v5, s1
.LBB20_27:
	s_or_b32 exec_lo, exec_lo, s3
.LBB20_28:
	s_delay_alu instid0(SALU_CYCLE_1) | instskip(SKIP_2) | instid1(VALU_DEP_2)
	s_or_b32 exec_lo, exec_lo, s5
	v_cmp_gt_f32_e64 s0, v17, v16
	v_mbcnt_lo_u32_b32 v7, -1, 0
	v_cndmask_b32_e64 v3, v16, v17, s0
	s_delay_alu instid0(VALU_DEP_2) | instskip(NEXT) | instid1(VALU_DEP_2)
	v_xor_b32_e32 v4, 16, v7
	v_cmp_gt_f32_e64 s0, v3, v10
	s_delay_alu instid0(VALU_DEP_1) | instskip(NEXT) | instid1(VALU_DEP_1)
	v_cndmask_b32_e64 v3, v10, v3, s0
	v_cmp_gt_f32_e64 s0, v3, v9
	s_delay_alu instid0(VALU_DEP_1) | instskip(NEXT) | instid1(VALU_DEP_1)
	v_cndmask_b32_e64 v3, v9, v3, s0
	;; [unrolled: 3-line block ×11, first 2 shown]
	v_cmp_gt_f32_e64 s0, v3, v23
	s_delay_alu instid0(VALU_DEP_1) | instskip(SKIP_1) | instid1(VALU_DEP_1)
	v_cndmask_b32_e64 v3, v23, v3, s0
	v_cmp_gt_i32_e64 s0, 32, v4
	v_cndmask_b32_e64 v4, v7, v4, s0
	s_delay_alu instid0(VALU_DEP_3) | instskip(NEXT) | instid1(VALU_DEP_1)
	v_cmp_gt_f32_e64 s0, v3, v18
	v_cndmask_b32_e64 v5, v18, v3, s0
	s_delay_alu instid0(VALU_DEP_3) | instskip(SKIP_1) | instid1(VALU_DEP_3)
	v_lshlrev_b32_e32 v3, 2, v4
	v_xor_b32_e32 v4, 8, v7
	v_cmp_gt_f32_e64 s0, v5, v15
	s_delay_alu instid0(VALU_DEP_1) | instskip(NEXT) | instid1(VALU_DEP_3)
	v_cndmask_b32_e64 v5, v15, v5, s0
	v_cmp_gt_i32_e64 s0, 32, v4
	ds_bpermute_b32 v6, v3, v5
	v_cndmask_b32_e64 v4, v7, v4, s0
	s_delay_alu instid0(VALU_DEP_1) | instskip(SKIP_2) | instid1(VALU_DEP_1)
	v_lshlrev_b32_e32 v4, 2, v4
	s_waitcnt lgkmcnt(0)
	v_cmp_lt_f32_e64 s0, v5, v6
	v_cndmask_b32_e64 v6, v5, v6, s0
	v_xor_b32_e32 v5, 4, v7
	ds_bpermute_b32 v8, v4, v6
	v_cmp_gt_i32_e64 s0, 32, v5
	s_delay_alu instid0(VALU_DEP_1) | instskip(NEXT) | instid1(VALU_DEP_1)
	v_cndmask_b32_e64 v5, v7, v5, s0
	v_lshlrev_b32_e32 v5, 2, v5
	s_waitcnt lgkmcnt(0)
	v_cmp_lt_f32_e64 s0, v6, v8
	s_delay_alu instid0(VALU_DEP_1) | instskip(SKIP_3) | instid1(VALU_DEP_1)
	v_cndmask_b32_e64 v8, v6, v8, s0
	v_xor_b32_e32 v6, 2, v7
	ds_bpermute_b32 v25, v5, v8
	v_cmp_gt_i32_e64 s0, 32, v6
	v_cndmask_b32_e64 v6, v7, v6, s0
	s_delay_alu instid0(VALU_DEP_1) | instskip(SKIP_2) | instid1(VALU_DEP_1)
	v_lshlrev_b32_e32 v6, 2, v6
	s_waitcnt lgkmcnt(0)
	v_cmp_lt_f32_e64 s0, v8, v25
	v_cndmask_b32_e64 v25, v8, v25, s0
	v_xor_b32_e32 v8, 1, v7
	ds_bpermute_b32 v26, v6, v25
	v_cmp_gt_i32_e64 s0, 32, v8
	s_delay_alu instid0(VALU_DEP_1) | instskip(NEXT) | instid1(VALU_DEP_1)
	v_cndmask_b32_e64 v7, v7, v8, s0
	v_lshlrev_b32_e32 v8, 2, v7
	s_waitcnt lgkmcnt(0)
	v_cmp_lt_f32_e64 s0, v25, v26
	s_delay_alu instid0(VALU_DEP_1) | instskip(SKIP_3) | instid1(VALU_DEP_1)
	v_cndmask_b32_e64 v7, v25, v26, s0
	ds_bpermute_b32 v25, v8, v7
	s_waitcnt lgkmcnt(0)
	v_cmp_lt_f32_e64 s0, v7, v25
	v_cndmask_b32_e64 v7, v7, v25, s0
	s_delay_alu instid0(VALU_DEP_1) | instskip(SKIP_3) | instid1(VALU_DEP_4)
	v_sub_f32_e32 v16, v16, v7
	v_sub_f32_e32 v19, v19, v7
	;; [unrolled: 1-line block ×4, first 2 shown]
	v_dual_sub_f32 v9, v9, v7 :: v_dual_mul_f32 v18, 0x3fb8aa3b, v16
	v_sub_f32_e32 v20, v20, v7
	v_sub_f32_e32 v17, v17, v7
	;; [unrolled: 1-line block ×3, first 2 shown]
	s_delay_alu instid0(VALU_DEP_4) | instskip(SKIP_3) | instid1(VALU_DEP_4)
	v_rndne_f32_e32 v44, v18
	v_sub_f32_e32 v29, v23, v7
	v_fma_f32 v43, 0x3fb8aa3b, v16, -v18
	v_cmp_ngt_f32_e64 s0, 0xc2ce8ed0, v17
	v_dual_sub_f32 v18, v18, v44 :: v_dual_sub_f32 v13, v13, v7
	s_delay_alu instid0(VALU_DEP_4) | instskip(SKIP_3) | instid1(VALU_DEP_3)
	v_dual_mul_f32 v38, 0x3fb8aa3b, v29 :: v_dual_sub_f32 v27, v21, v7
	v_dual_mul_f32 v21, 0x3fb8aa3b, v10 :: v_dual_sub_f32 v12, v12, v7
	;; [unrolled: 1-line block ×3, first 2 shown]
	v_mul_f32_e32 v22, 0x3fb8aa3b, v9
	v_dual_mul_f32 v36, 0x3fb8aa3b, v13 :: v_dual_mul_f32 v25, 0x3fb8aa3b, v12
	s_delay_alu instid0(VALU_DEP_3) | instskip(SKIP_1) | instid1(VALU_DEP_4)
	v_dual_sub_f32 v14, v14, v7 :: v_dual_mul_f32 v33, 0x3fb8aa3b, v26
	v_sub_f32_e32 v28, v24, v7
	v_rndne_f32_e32 v48, v22
	v_sub_f32_e32 v31, v15, v7
	v_mul_f32_e32 v15, 0x3fb8aa3b, v17
	v_mul_f32_e32 v35, 0x3fb8aa3b, v14
	v_dual_mul_f32 v37, 0x3fb8aa3b, v28 :: v_dual_mul_f32 v24, 0x3fb8aa3b, v19
	v_mul_f32_e32 v39, 0x3fb8aa3b, v30
	s_delay_alu instid0(VALU_DEP_4)
	v_fma_f32 v41, 0x3fb8aa3b, v17, -v15
	v_rndne_f32_e32 v42, v15
	v_rndne_f32_e32 v46, v21
	v_mul_f32_e32 v34, 0x3fb8aa3b, v27
	v_mul_f32_e32 v32, 0x3fb8aa3b, v11
	v_fma_f32 v45, 0x3fb8aa3b, v10, -v21
	v_sub_f32_e32 v15, v15, v42
	v_fma_f32 v47, 0x3fb8aa3b, v9, -v22
	v_rndne_f32_e32 v52, v24
	v_fmac_f32_e32 v41, 0x32a5705f, v17
	v_sub_f32_e32 v21, v21, v46
	v_rndne_f32_e32 v60, v34
	v_fma_f32 v49, 0x3fb8aa3b, v20, -v23
	v_fma_f32 v51, 0x3fb8aa3b, v19, -v24
	v_sub_f32_e32 v24, v24, v52
	v_fma_f32 v59, 0x3fb8aa3b, v27, -v34
	v_dual_fmac_f32 v47, 0x32a5705f, v9 :: v_dual_sub_f32 v34, v34, v60
	v_sub_f32_e32 v22, v22, v48
	v_fmac_f32_e32 v43, 0x32a5705f, v16
	v_add_f32_e32 v15, v15, v41
	v_rndne_f32_e32 v56, v32
	s_delay_alu instid0(VALU_DEP_4) | instskip(NEXT) | instid1(VALU_DEP_4)
	v_dual_fmac_f32 v45, 0x32a5705f, v10 :: v_dual_add_f32 v22, v22, v47
	v_dual_fmac_f32 v49, 0x32a5705f, v20 :: v_dual_add_f32 v18, v18, v43
	s_delay_alu instid0(VALU_DEP_4)
	v_exp_f32_e32 v15, v15
	v_fma_f32 v53, 0x3fb8aa3b, v12, -v25
	v_rndne_f32_e32 v54, v25
	v_fma_f32 v55, 0x3fb8aa3b, v11, -v32
	v_rndne_f32_e32 v64, v36
	v_cvt_i32_f32_e32 v42, v42
	v_dual_sub_f32 v32, v32, v56 :: v_dual_add_f32 v21, v21, v45
	v_exp_f32_e32 v18, v18
	v_fma_f32 v63, 0x3fb8aa3b, v13, -v36
	v_rndne_f32_e32 v68, v38
	v_cvt_i32_f32_e32 v44, v44
	v_dual_fmac_f32 v51, 0x32a5705f, v19 :: v_dual_sub_f32 v36, v36, v64
	v_fmac_f32_e32 v53, 0x32a5705f, v12
	v_sub_f32_e32 v25, v25, v54
	v_exp_f32_e32 v21, v21
	v_ldexp_f32 v15, v15, v42
	v_fma_f32 v67, 0x3fb8aa3b, v29, -v38
	v_sub_f32_e32 v38, v38, v68
	v_cvt_i32_f32_e32 v46, v46
	v_dual_add_f32 v24, v24, v51 :: v_dual_add_f32 v25, v25, v53
	v_ldexp_f32 v18, v18, v44
	v_cndmask_b32_e64 v15, 0, v15, s0
	v_cmp_ngt_f32_e64 s0, 0xc2ce8ed0, v16
	v_rndne_f32_e32 v50, v23
	v_exp_f32_e32 v25, v25
	v_ldexp_f32 v21, v21, v46
	v_mul_f32_e32 v40, 0x3fb8aa3b, v31
	v_cndmask_b32_e64 v18, 0, v18, s0
	v_sub_f32_e32 v23, v23, v50
	v_cmp_ngt_f32_e64 s0, 0xc2ce8ed0, v10
	v_cvt_i32_f32_e32 v54, v54
	v_exp_f32_e32 v22, v22
	v_exp_f32_e32 v24, v24
	v_cvt_i32_f32_e32 v48, v48
	v_cndmask_b32_e64 v21, 0, v21, s0
	v_cmp_nlt_f32_e64 s0, 0x42b17218, v17
	v_cvt_i32_f32_e32 v52, v52
	v_add_f32_e32 v23, v23, v49
	v_ldexp_f32 v43, v25, v54
	v_cvt_i32_f32_e32 v50, v50
	v_cndmask_b32_e64 v25, 0x7f800000, v15, s0
	v_cmp_nlt_f32_e64 s0, 0x42b17218, v16
	v_exp_f32_e32 v23, v23
	v_ldexp_f32 v22, v22, v48
	v_ldexp_f32 v42, v24, v52
	v_fma_f32 v57, 0x3fb8aa3b, v26, -v33
	v_cndmask_b32_e64 v24, 0x7f800000, v18, s0
	v_cmp_ngt_f32_e64 s0, 0xc2ce8ed0, v9
	v_rndne_f32_e32 v72, v40
	v_fmac_f32_e32 v55, 0x32a5705f, v11
	v_fmac_f32_e32 v59, 0x32a5705f, v27
	v_rndne_f32_e32 v58, v33
	v_cndmask_b32_e64 v15, 0, v22, s0
	v_cmp_nlt_f32_e64 s0, 0x42b17218, v10
	v_add_f32_e32 v10, v25, v24
	v_ldexp_f32 v41, v23, v50
	v_fma_f32 v71, 0x3fb8aa3b, v31, -v40
	v_sub_f32_e32 v40, v40, v72
	v_cndmask_b32_e64 v23, 0x7f800000, v21, s0
	v_cmp_ngt_f32_e64 s0, 0xc2ce8ed0, v20
	v_dual_fmac_f32 v57, 0x32a5705f, v26 :: v_dual_add_f32 v32, v32, v55
	v_dual_sub_f32 v33, v33, v58 :: v_dual_add_f32 v34, v34, v59
	s_delay_alu instid0(VALU_DEP_3)
	v_cndmask_b32_e64 v16, 0, v41, s0
	v_cmp_nlt_f32_e64 s0, 0x42b17218, v9
	v_add_f32_e32 v9, v10, v23
	v_exp_f32_e32 v32, v32
	v_cvt_i32_f32_e32 v56, v56
	v_add_f32_e32 v33, v33, v57
	v_cndmask_b32_e64 v22, 0x7f800000, v15, s0
	v_cmp_ngt_f32_e64 s0, 0xc2ce8ed0, v19
	v_fma_f32 v61, 0x3fb8aa3b, v14, -v35
	v_rndne_f32_e32 v62, v35
	v_exp_f32_e32 v33, v33
	v_cvt_i32_f32_e32 v58, v58
	v_cndmask_b32_e64 v10, 0, v42, s0
	v_cmp_nlt_f32_e64 s0, 0x42b17218, v20
	v_ldexp_f32 v32, v32, v56
	v_fmac_f32_e32 v71, 0x32a5705f, v31
	v_fmac_f32_e32 v63, 0x32a5705f, v13
	;; [unrolled: 1-line block ×3, first 2 shown]
	v_cndmask_b32_e64 v21, 0x7f800000, v16, s0
	v_cmp_ngt_f32_e64 s0, 0xc2ce8ed0, v12
	v_dual_sub_f32 v35, v35, v62 :: v_dual_add_f32 v40, v40, v71
	s_delay_alu instid0(VALU_DEP_4) | instskip(SKIP_1) | instid1(VALU_DEP_4)
	v_dual_add_f32 v38, v38, v67 :: v_dual_fmac_f32 v61, 0x32a5705f, v14
	v_add_f32_e32 v36, v36, v63
	v_cndmask_b32_e64 v15, 0, v43, s0
	v_cmp_nlt_f32_e64 s0, 0x42b17218, v19
	v_exp_f32_e32 v34, v34
	v_ldexp_f32 v33, v33, v58
	v_cvt_i32_f32_e32 v60, v60
	v_add_f32_e32 v35, v35, v61
	v_cndmask_b32_e64 v20, 0x7f800000, v10, s0
	v_cmp_ngt_f32_e64 s0, 0xc2ce8ed0, v11
	v_add_f32_e32 v9, v9, v22
	v_cvt_i32_f32_e32 v62, v62
	v_exp_f32_e32 v35, v35
	v_fma_f32 v65, 0x3fb8aa3b, v28, -v37
	v_cndmask_b32_e64 v10, 0, v32, s0
	v_cmp_nlt_f32_e64 s0, 0x42b17218, v12
	v_ldexp_f32 v34, v34, v60
	v_add_f32_e32 v9, v9, v21
	v_rndne_f32_e32 v66, v37
	v_exp_f32_e32 v36, v36
	v_cndmask_b32_e64 v19, 0x7f800000, v15, s0
	v_cmp_ngt_f32_e64 s0, 0xc2ce8ed0, v26
	v_add_f32_e32 v9, v9, v20
	v_ldexp_f32 v35, v35, v62
	v_cvt_i32_f32_e32 v64, v64
	v_fma_f32 v69, 0x3fb8aa3b, v30, -v39
	v_cndmask_b32_e64 v12, 0, v33, s0
	v_cmp_nlt_f32_e64 s0, 0x42b17218, v11
	v_add_f32_e32 v9, v9, v19
	v_ldexp_f32 v36, v36, v64
	v_rndne_f32_e32 v70, v39
	v_exp_f32_e32 v38, v38
	v_cndmask_b32_e64 v18, 0x7f800000, v10, s0
	v_cmp_ngt_f32_e64 s0, 0xc2ce8ed0, v27
	v_cvt_i32_f32_e32 v68, v68
	v_sub_f32_e32 v39, v39, v70
	v_cvt_i32_f32_e32 v70, v70
	v_add_f32_e32 v9, v9, v18
	v_cndmask_b32_e64 v10, 0, v34, s0
	v_cmp_nlt_f32_e64 s0, 0x42b17218, v26
	v_exp_f32_e32 v40, v40
	v_ldexp_f32 v38, v38, v68
	v_cvt_i32_f32_e32 v72, v72
	s_delay_alu instid0(VALU_DEP_3) | instskip(SKIP_2) | instid1(VALU_DEP_2)
	v_cndmask_b32_e64 v17, 0x7f800000, v12, s0
	v_cmp_ngt_f32_e64 s0, 0xc2ce8ed0, v14
	v_fmac_f32_e32 v65, 0x32a5705f, v28
	v_cndmask_b32_e64 v11, 0, v35, s0
	v_cmp_nlt_f32_e64 s0, 0x42b17218, v27
	s_delay_alu instid0(TRANS32_DEP_1) | instskip(NEXT) | instid1(VALU_DEP_2)
	v_ldexp_f32 v26, v40, v72
	v_cndmask_b32_e64 v16, 0x7f800000, v10, s0
	v_add_f32_e32 v10, v9, v17
	v_sub_f32_e32 v37, v37, v66
	v_cmp_ngt_f32_e64 s0, 0xc2ce8ed0, v13
	v_cvt_i32_f32_e32 v66, v66
	s_delay_alu instid0(VALU_DEP_3) | instskip(NEXT) | instid1(VALU_DEP_3)
	v_dual_add_f32 v10, v10, v16 :: v_dual_add_f32 v37, v37, v65
	v_cndmask_b32_e64 v12, 0, v36, s0
	v_cmp_nlt_f32_e64 s0, 0x42b17218, v14
	s_delay_alu instid0(VALU_DEP_3) | instskip(NEXT) | instid1(VALU_DEP_1)
	v_exp_f32_e32 v37, v37
	v_cndmask_b32_e64 v9, 0x7f800000, v11, s0
	v_fmac_f32_e32 v69, 0x32a5705f, v30
	v_cmp_ngt_f32_e64 s0, 0xc2ce8ed0, v28
	s_delay_alu instid0(VALU_DEP_3) | instskip(NEXT) | instid1(VALU_DEP_3)
	v_add_f32_e32 v10, v10, v9
	v_add_f32_e32 v39, v39, v69
	s_waitcnt_depctr 0xfff
	v_ldexp_f32 v37, v37, v66
	v_exp_f32_e32 v39, v39
	s_delay_alu instid0(VALU_DEP_1) | instskip(SKIP_1) | instid1(VALU_DEP_1)
	v_cndmask_b32_e64 v11, 0, v37, s0
	v_cmp_nlt_f32_e64 s0, 0x42b17218, v13
	v_cndmask_b32_e64 v15, 0x7f800000, v12, s0
	v_cmp_ngt_f32_e64 s0, 0xc2ce8ed0, v29
	s_waitcnt_depctr 0xfff
	v_ldexp_f32 v39, v39, v70
	v_add_f32_e32 v10, v10, v15
	v_cndmask_b32_e64 v12, 0, v38, s0
	v_cmp_nlt_f32_e64 s0, 0x42b17218, v28
	s_delay_alu instid0(VALU_DEP_1) | instskip(SKIP_1) | instid1(VALU_DEP_1)
	v_cndmask_b32_e64 v14, 0x7f800000, v11, s0
	v_cmp_ngt_f32_e64 s0, 0xc2ce8ed0, v30
	v_cndmask_b32_e64 v11, 0, v39, s0
	v_cmp_nlt_f32_e64 s0, 0x42b17218, v29
	s_delay_alu instid0(VALU_DEP_1) | instskip(SKIP_2) | instid1(VALU_DEP_2)
	v_cndmask_b32_e64 v13, 0x7f800000, v12, s0
	v_cmp_nlt_f32_e64 s0, 0x42b17218, v30
	v_add_f32_e32 v12, v10, v14
	v_cndmask_b32_e64 v10, 0x7f800000, v11, s0
	v_cmp_ngt_f32_e64 s0, 0xc2ce8ed0, v31
	s_delay_alu instid0(VALU_DEP_3) | instskip(NEXT) | instid1(VALU_DEP_2)
	v_add_f32_e32 v11, v12, v13
	v_cndmask_b32_e64 v12, 0, v26, s0
	v_cmp_nlt_f32_e64 s0, 0x42b17218, v31
	s_delay_alu instid0(VALU_DEP_3) | instskip(NEXT) | instid1(VALU_DEP_2)
	v_add_f32_e32 v26, v11, v10
	v_cndmask_b32_e64 v11, 0x7f800000, v12, s0
	v_cmp_gt_i32_e64 s0, s6, v0
	s_delay_alu instid0(VALU_DEP_2) | instskip(NEXT) | instid1(VALU_DEP_2)
	v_add_f32_e32 v12, v26, v11
	s_and_b32 s0, vcc_lo, s0
	ds_bpermute_b32 v3, v3, v12
	s_waitcnt lgkmcnt(0)
	v_add_f32_e32 v3, v12, v3
	ds_bpermute_b32 v4, v4, v3
	s_waitcnt lgkmcnt(0)
	v_add_f32_e32 v3, v3, v4
	;; [unrolled: 3-line block ×4, first 2 shown]
	ds_bpermute_b32 v6, v8, v5
	s_and_saveexec_b32 s1, s0
	s_cbranch_execz .LBB20_129
; %bb.29:
	s_waitcnt lgkmcnt(0)
	v_dual_mov_b32 v3, 0 :: v_dual_add_f32 v12, v5, v6
	v_cmp_neq_f32_e64 s0, 0xc61c4000, v7
	v_mov_b32_e32 v4, 0
	s_delay_alu instid0(VALU_DEP_2)
	s_and_saveexec_b32 s1, s0
	s_cbranch_execz .LBB20_35
; %bb.30:
	v_div_scale_f32 v3, null, v12, v12, v25
	s_delay_alu instid0(VALU_DEP_1) | instskip(SKIP_2) | instid1(VALU_DEP_1)
	v_rcp_f32_e32 v4, v3
	s_waitcnt_depctr 0xfff
	v_fma_f32 v5, -v3, v4, 1.0
	v_fmac_f32_e32 v4, v5, v4
	v_div_scale_f32 v5, vcc_lo, v25, v12, v25
	s_delay_alu instid0(VALU_DEP_1) | instskip(NEXT) | instid1(VALU_DEP_1)
	v_mul_f32_e32 v6, v5, v4
	v_fma_f32 v7, -v3, v6, v5
	s_delay_alu instid0(VALU_DEP_1) | instskip(NEXT) | instid1(VALU_DEP_1)
	v_fmac_f32_e32 v6, v7, v4
	v_fma_f32 v3, -v3, v6, v5
	s_delay_alu instid0(VALU_DEP_1) | instskip(NEXT) | instid1(VALU_DEP_1)
	v_div_fmas_f32 v3, v3, v4, v6
	v_div_fixup_f32 v3, v3, v12, v25
	s_delay_alu instid0(VALU_DEP_1) | instskip(NEXT) | instid1(VALU_DEP_1)
	v_and_b32_e32 v4, 0x7f800000, v3
	v_cmp_ne_u32_e32 vcc_lo, 0x7f800000, v4
                                        ; implicit-def: $vgpr4
	s_and_saveexec_b32 s2, vcc_lo
	s_delay_alu instid0(SALU_CYCLE_1)
	s_xor_b32 s2, exec_lo, s2
; %bb.31:
	v_bfe_u32 v4, v3, 16, 1
	s_delay_alu instid0(VALU_DEP_1)
	v_add3_u32 v4, v3, v4, 0x7fff
                                        ; implicit-def: $vgpr3
; %bb.32:
	s_and_not1_saveexec_b32 s2, s2
; %bb.33:
	v_and_b32_e32 v4, 0xffff, v3
	v_or_b32_e32 v5, 0x10000, v3
	s_delay_alu instid0(VALU_DEP_2) | instskip(NEXT) | instid1(VALU_DEP_2)
	v_cmp_eq_u32_e32 vcc_lo, 0, v4
	v_cndmask_b32_e32 v4, v5, v3, vcc_lo
; %bb.34:
	s_or_b32 exec_lo, exec_lo, s2
	s_delay_alu instid0(VALU_DEP_1)
	v_lshrrev_b32_e32 v3, 16, v4
	v_mov_b32_e32 v4, 0
.LBB20_35:
	s_or_b32 exec_lo, exec_lo, s1
	v_mov_b32_e32 v5, 0
	v_mov_b32_e32 v6, 0
	s_and_saveexec_b32 s1, s0
	s_cbranch_execz .LBB20_41
; %bb.36:
	v_div_scale_f32 v5, null, v12, v12, v24
	s_delay_alu instid0(VALU_DEP_1) | instskip(SKIP_2) | instid1(VALU_DEP_1)
	v_rcp_f32_e32 v6, v5
	s_waitcnt_depctr 0xfff
	v_fma_f32 v7, -v5, v6, 1.0
	v_fmac_f32_e32 v6, v7, v6
	v_div_scale_f32 v7, vcc_lo, v24, v12, v24
	s_delay_alu instid0(VALU_DEP_1) | instskip(NEXT) | instid1(VALU_DEP_1)
	v_mul_f32_e32 v8, v7, v6
	v_fma_f32 v25, -v5, v8, v7
	s_delay_alu instid0(VALU_DEP_1) | instskip(NEXT) | instid1(VALU_DEP_1)
	v_fmac_f32_e32 v8, v25, v6
	v_fma_f32 v5, -v5, v8, v7
	s_delay_alu instid0(VALU_DEP_1) | instskip(NEXT) | instid1(VALU_DEP_1)
	v_div_fmas_f32 v5, v5, v6, v8
	v_div_fixup_f32 v5, v5, v12, v24
	s_delay_alu instid0(VALU_DEP_1) | instskip(NEXT) | instid1(VALU_DEP_1)
	v_and_b32_e32 v6, 0x7f800000, v5
	v_cmp_ne_u32_e32 vcc_lo, 0x7f800000, v6
                                        ; implicit-def: $vgpr6
	s_and_saveexec_b32 s2, vcc_lo
	s_delay_alu instid0(SALU_CYCLE_1)
	s_xor_b32 s2, exec_lo, s2
; %bb.37:
	v_bfe_u32 v6, v5, 16, 1
	s_delay_alu instid0(VALU_DEP_1)
	v_add3_u32 v6, v5, v6, 0x7fff
                                        ; implicit-def: $vgpr5
; %bb.38:
	s_and_not1_saveexec_b32 s2, s2
; %bb.39:
	v_and_b32_e32 v6, 0xffff, v5
	v_or_b32_e32 v7, 0x10000, v5
	s_delay_alu instid0(VALU_DEP_2) | instskip(NEXT) | instid1(VALU_DEP_2)
	v_cmp_eq_u32_e32 vcc_lo, 0, v6
	v_cndmask_b32_e32 v6, v7, v5, vcc_lo
; %bb.40:
	s_or_b32 exec_lo, exec_lo, s2
	s_delay_alu instid0(VALU_DEP_1)
	v_lshrrev_b32_e32 v5, 16, v6
.LBB20_41:
	s_or_b32 exec_lo, exec_lo, s1
	v_mov_b32_e32 v6, 0
	v_mov_b32_e32 v7, 0
	s_and_saveexec_b32 s1, s0
	s_cbranch_execz .LBB20_47
; %bb.42:
	v_div_scale_f32 v6, null, v12, v12, v23
	s_delay_alu instid0(VALU_DEP_1) | instskip(SKIP_2) | instid1(VALU_DEP_1)
	v_rcp_f32_e32 v7, v6
	s_waitcnt_depctr 0xfff
	v_fma_f32 v8, -v6, v7, 1.0
	v_fmac_f32_e32 v7, v8, v7
	v_div_scale_f32 v8, vcc_lo, v23, v12, v23
	s_delay_alu instid0(VALU_DEP_1) | instskip(NEXT) | instid1(VALU_DEP_1)
	v_mul_f32_e32 v24, v8, v7
	v_fma_f32 v25, -v6, v24, v8
	s_delay_alu instid0(VALU_DEP_1) | instskip(NEXT) | instid1(VALU_DEP_1)
	v_fmac_f32_e32 v24, v25, v7
	v_fma_f32 v6, -v6, v24, v8
	s_delay_alu instid0(VALU_DEP_1) | instskip(NEXT) | instid1(VALU_DEP_1)
	v_div_fmas_f32 v6, v6, v7, v24
	v_div_fixup_f32 v6, v6, v12, v23
	s_delay_alu instid0(VALU_DEP_1) | instskip(NEXT) | instid1(VALU_DEP_1)
	v_and_b32_e32 v7, 0x7f800000, v6
	v_cmp_ne_u32_e32 vcc_lo, 0x7f800000, v7
                                        ; implicit-def: $vgpr7
	s_and_saveexec_b32 s2, vcc_lo
	s_delay_alu instid0(SALU_CYCLE_1)
	s_xor_b32 s2, exec_lo, s2
; %bb.43:
	v_bfe_u32 v7, v6, 16, 1
	s_delay_alu instid0(VALU_DEP_1)
	v_add3_u32 v7, v6, v7, 0x7fff
                                        ; implicit-def: $vgpr6
; %bb.44:
	s_and_not1_saveexec_b32 s2, s2
; %bb.45:
	v_and_b32_e32 v7, 0xffff, v6
	v_or_b32_e32 v8, 0x10000, v6
	s_delay_alu instid0(VALU_DEP_2) | instskip(NEXT) | instid1(VALU_DEP_2)
	v_cmp_eq_u32_e32 vcc_lo, 0, v7
	v_cndmask_b32_e32 v7, v8, v6, vcc_lo
; %bb.46:
	s_or_b32 exec_lo, exec_lo, s2
	s_delay_alu instid0(VALU_DEP_1)
	v_lshrrev_b32_e32 v6, 16, v7
.LBB20_47:
	s_or_b32 exec_lo, exec_lo, s1
	v_mov_b32_e32 v7, 0
	v_mov_b32_e32 v8, 0
	s_and_saveexec_b32 s1, s0
	s_cbranch_execz .LBB20_53
; %bb.48:
	v_div_scale_f32 v7, null, v12, v12, v22
	s_delay_alu instid0(VALU_DEP_1) | instskip(SKIP_2) | instid1(VALU_DEP_1)
	v_rcp_f32_e32 v8, v7
	s_waitcnt_depctr 0xfff
	v_fma_f32 v23, -v7, v8, 1.0
	v_fmac_f32_e32 v8, v23, v8
	v_div_scale_f32 v23, vcc_lo, v22, v12, v22
	s_delay_alu instid0(VALU_DEP_1) | instskip(NEXT) | instid1(VALU_DEP_1)
	v_mul_f32_e32 v24, v23, v8
	v_fma_f32 v25, -v7, v24, v23
	s_delay_alu instid0(VALU_DEP_1) | instskip(NEXT) | instid1(VALU_DEP_1)
	v_fmac_f32_e32 v24, v25, v8
	v_fma_f32 v7, -v7, v24, v23
	s_delay_alu instid0(VALU_DEP_1) | instskip(NEXT) | instid1(VALU_DEP_1)
	v_div_fmas_f32 v7, v7, v8, v24
	v_div_fixup_f32 v7, v7, v12, v22
	s_delay_alu instid0(VALU_DEP_1) | instskip(NEXT) | instid1(VALU_DEP_1)
	v_and_b32_e32 v8, 0x7f800000, v7
	v_cmp_ne_u32_e32 vcc_lo, 0x7f800000, v8
                                        ; implicit-def: $vgpr8
	s_and_saveexec_b32 s2, vcc_lo
	s_delay_alu instid0(SALU_CYCLE_1)
	s_xor_b32 s2, exec_lo, s2
; %bb.49:
	v_bfe_u32 v8, v7, 16, 1
	s_delay_alu instid0(VALU_DEP_1)
	v_add3_u32 v8, v7, v8, 0x7fff
                                        ; implicit-def: $vgpr7
; %bb.50:
	s_and_not1_saveexec_b32 s2, s2
; %bb.51:
	v_and_b32_e32 v8, 0xffff, v7
	v_or_b32_e32 v22, 0x10000, v7
	s_delay_alu instid0(VALU_DEP_2) | instskip(NEXT) | instid1(VALU_DEP_2)
	v_cmp_eq_u32_e32 vcc_lo, 0, v8
	v_cndmask_b32_e32 v8, v22, v7, vcc_lo
; %bb.52:
	s_or_b32 exec_lo, exec_lo, s2
	s_delay_alu instid0(VALU_DEP_1)
	v_lshrrev_b32_e32 v7, 16, v8
.LBB20_53:
	s_or_b32 exec_lo, exec_lo, s1
	s_delay_alu instid0(VALU_DEP_1) | instskip(SKIP_3) | instid1(VALU_DEP_4)
	v_lshlrev_b32_e32 v7, 16, v7
	v_lshlrev_b32_e32 v5, 16, v5
	v_add_nc_u32_e32 v8, 0x80, v0
	v_add_co_u32 v1, vcc_lo, s8, v1
	v_or_b32_e32 v6, v7, v6
	v_add_co_ci_u32_e32 v2, vcc_lo, s9, v2, vcc_lo
	v_or_b32_e32 v3, v5, v3
	v_cmp_gt_u32_e32 vcc_lo, s6, v8
	s_delay_alu instid0(VALU_DEP_4)
	v_or_b32_e32 v4, v6, v4
	global_store_b64 v[1:2], v[3:4], off
	s_and_b32 exec_lo, exec_lo, vcc_lo
	s_cbranch_execz .LBB20_129
; %bb.54:
	v_mov_b32_e32 v3, 0
	v_mov_b32_e32 v4, 0
	s_and_saveexec_b32 s1, s0
	s_cbranch_execz .LBB20_60
; %bb.55:
	v_div_scale_f32 v3, null, v12, v12, v21
	s_delay_alu instid0(VALU_DEP_1) | instskip(SKIP_2) | instid1(VALU_DEP_1)
	v_rcp_f32_e32 v4, v3
	s_waitcnt_depctr 0xfff
	v_fma_f32 v5, -v3, v4, 1.0
	v_fmac_f32_e32 v4, v5, v4
	v_div_scale_f32 v5, vcc_lo, v21, v12, v21
	s_delay_alu instid0(VALU_DEP_1) | instskip(NEXT) | instid1(VALU_DEP_1)
	v_mul_f32_e32 v6, v5, v4
	v_fma_f32 v7, -v3, v6, v5
	s_delay_alu instid0(VALU_DEP_1) | instskip(NEXT) | instid1(VALU_DEP_1)
	v_fmac_f32_e32 v6, v7, v4
	v_fma_f32 v3, -v3, v6, v5
	s_delay_alu instid0(VALU_DEP_1) | instskip(NEXT) | instid1(VALU_DEP_1)
	v_div_fmas_f32 v3, v3, v4, v6
	v_div_fixup_f32 v3, v3, v12, v21
	s_delay_alu instid0(VALU_DEP_1) | instskip(NEXT) | instid1(VALU_DEP_1)
	v_and_b32_e32 v4, 0x7f800000, v3
	v_cmp_ne_u32_e32 vcc_lo, 0x7f800000, v4
                                        ; implicit-def: $vgpr4
	s_and_saveexec_b32 s2, vcc_lo
	s_delay_alu instid0(SALU_CYCLE_1)
	s_xor_b32 s2, exec_lo, s2
; %bb.56:
	v_bfe_u32 v4, v3, 16, 1
	s_delay_alu instid0(VALU_DEP_1)
	v_add3_u32 v4, v3, v4, 0x7fff
                                        ; implicit-def: $vgpr3
; %bb.57:
	s_and_not1_saveexec_b32 s2, s2
; %bb.58:
	v_and_b32_e32 v4, 0xffff, v3
	v_or_b32_e32 v5, 0x10000, v3
	s_delay_alu instid0(VALU_DEP_2) | instskip(NEXT) | instid1(VALU_DEP_2)
	v_cmp_eq_u32_e32 vcc_lo, 0, v4
	v_cndmask_b32_e32 v4, v5, v3, vcc_lo
; %bb.59:
	s_or_b32 exec_lo, exec_lo, s2
	s_delay_alu instid0(VALU_DEP_1)
	v_lshrrev_b32_e32 v3, 16, v4
	v_mov_b32_e32 v4, 0
.LBB20_60:
	s_or_b32 exec_lo, exec_lo, s1
	v_mov_b32_e32 v5, 0
	v_mov_b32_e32 v6, 0
	s_and_saveexec_b32 s1, s0
	s_cbranch_execz .LBB20_66
; %bb.61:
	v_div_scale_f32 v5, null, v12, v12, v20
	s_delay_alu instid0(VALU_DEP_1) | instskip(SKIP_2) | instid1(VALU_DEP_1)
	v_rcp_f32_e32 v6, v5
	s_waitcnt_depctr 0xfff
	v_fma_f32 v7, -v5, v6, 1.0
	v_fmac_f32_e32 v6, v7, v6
	v_div_scale_f32 v7, vcc_lo, v20, v12, v20
	s_delay_alu instid0(VALU_DEP_1) | instskip(NEXT) | instid1(VALU_DEP_1)
	v_mul_f32_e32 v8, v7, v6
	v_fma_f32 v21, -v5, v8, v7
	s_delay_alu instid0(VALU_DEP_1) | instskip(NEXT) | instid1(VALU_DEP_1)
	v_fmac_f32_e32 v8, v21, v6
	v_fma_f32 v5, -v5, v8, v7
	s_delay_alu instid0(VALU_DEP_1) | instskip(NEXT) | instid1(VALU_DEP_1)
	v_div_fmas_f32 v5, v5, v6, v8
	v_div_fixup_f32 v5, v5, v12, v20
	s_delay_alu instid0(VALU_DEP_1) | instskip(NEXT) | instid1(VALU_DEP_1)
	v_and_b32_e32 v6, 0x7f800000, v5
	v_cmp_ne_u32_e32 vcc_lo, 0x7f800000, v6
                                        ; implicit-def: $vgpr6
	s_and_saveexec_b32 s2, vcc_lo
	s_delay_alu instid0(SALU_CYCLE_1)
	s_xor_b32 s2, exec_lo, s2
; %bb.62:
	v_bfe_u32 v6, v5, 16, 1
	s_delay_alu instid0(VALU_DEP_1)
	v_add3_u32 v6, v5, v6, 0x7fff
                                        ; implicit-def: $vgpr5
; %bb.63:
	s_and_not1_saveexec_b32 s2, s2
; %bb.64:
	v_and_b32_e32 v6, 0xffff, v5
	v_or_b32_e32 v7, 0x10000, v5
	s_delay_alu instid0(VALU_DEP_2) | instskip(NEXT) | instid1(VALU_DEP_2)
	v_cmp_eq_u32_e32 vcc_lo, 0, v6
	v_cndmask_b32_e32 v6, v7, v5, vcc_lo
; %bb.65:
	s_or_b32 exec_lo, exec_lo, s2
	s_delay_alu instid0(VALU_DEP_1)
	v_lshrrev_b32_e32 v5, 16, v6
.LBB20_66:
	s_or_b32 exec_lo, exec_lo, s1
	v_mov_b32_e32 v6, 0
	v_mov_b32_e32 v7, 0
	s_and_saveexec_b32 s1, s0
	s_cbranch_execz .LBB20_72
; %bb.67:
	v_div_scale_f32 v6, null, v12, v12, v19
	s_delay_alu instid0(VALU_DEP_1) | instskip(SKIP_2) | instid1(VALU_DEP_1)
	v_rcp_f32_e32 v7, v6
	s_waitcnt_depctr 0xfff
	v_fma_f32 v8, -v6, v7, 1.0
	v_fmac_f32_e32 v7, v8, v7
	v_div_scale_f32 v8, vcc_lo, v19, v12, v19
	s_delay_alu instid0(VALU_DEP_1) | instskip(NEXT) | instid1(VALU_DEP_1)
	v_mul_f32_e32 v20, v8, v7
	v_fma_f32 v21, -v6, v20, v8
	s_delay_alu instid0(VALU_DEP_1) | instskip(NEXT) | instid1(VALU_DEP_1)
	v_fmac_f32_e32 v20, v21, v7
	v_fma_f32 v6, -v6, v20, v8
	s_delay_alu instid0(VALU_DEP_1) | instskip(NEXT) | instid1(VALU_DEP_1)
	v_div_fmas_f32 v6, v6, v7, v20
	v_div_fixup_f32 v6, v6, v12, v19
	s_delay_alu instid0(VALU_DEP_1) | instskip(NEXT) | instid1(VALU_DEP_1)
	v_and_b32_e32 v7, 0x7f800000, v6
	v_cmp_ne_u32_e32 vcc_lo, 0x7f800000, v7
                                        ; implicit-def: $vgpr7
	s_and_saveexec_b32 s2, vcc_lo
	s_delay_alu instid0(SALU_CYCLE_1)
	s_xor_b32 s2, exec_lo, s2
; %bb.68:
	v_bfe_u32 v7, v6, 16, 1
	s_delay_alu instid0(VALU_DEP_1)
	v_add3_u32 v7, v6, v7, 0x7fff
                                        ; implicit-def: $vgpr6
; %bb.69:
	s_and_not1_saveexec_b32 s2, s2
; %bb.70:
	v_and_b32_e32 v7, 0xffff, v6
	v_or_b32_e32 v8, 0x10000, v6
	s_delay_alu instid0(VALU_DEP_2) | instskip(NEXT) | instid1(VALU_DEP_2)
	v_cmp_eq_u32_e32 vcc_lo, 0, v7
	v_cndmask_b32_e32 v7, v8, v6, vcc_lo
; %bb.71:
	s_or_b32 exec_lo, exec_lo, s2
	s_delay_alu instid0(VALU_DEP_1)
	v_lshrrev_b32_e32 v6, 16, v7
.LBB20_72:
	s_or_b32 exec_lo, exec_lo, s1
	v_mov_b32_e32 v7, 0
	v_mov_b32_e32 v8, 0
	s_and_saveexec_b32 s1, s0
	s_cbranch_execz .LBB20_78
; %bb.73:
	v_div_scale_f32 v7, null, v12, v12, v18
	s_delay_alu instid0(VALU_DEP_1) | instskip(SKIP_2) | instid1(VALU_DEP_1)
	v_rcp_f32_e32 v8, v7
	s_waitcnt_depctr 0xfff
	v_fma_f32 v19, -v7, v8, 1.0
	v_fmac_f32_e32 v8, v19, v8
	v_div_scale_f32 v19, vcc_lo, v18, v12, v18
	s_delay_alu instid0(VALU_DEP_1) | instskip(NEXT) | instid1(VALU_DEP_1)
	v_mul_f32_e32 v20, v19, v8
	v_fma_f32 v21, -v7, v20, v19
	s_delay_alu instid0(VALU_DEP_1) | instskip(NEXT) | instid1(VALU_DEP_1)
	v_fmac_f32_e32 v20, v21, v8
	v_fma_f32 v7, -v7, v20, v19
	s_delay_alu instid0(VALU_DEP_1) | instskip(NEXT) | instid1(VALU_DEP_1)
	v_div_fmas_f32 v7, v7, v8, v20
	v_div_fixup_f32 v7, v7, v12, v18
	s_delay_alu instid0(VALU_DEP_1) | instskip(NEXT) | instid1(VALU_DEP_1)
	v_and_b32_e32 v8, 0x7f800000, v7
	v_cmp_ne_u32_e32 vcc_lo, 0x7f800000, v8
                                        ; implicit-def: $vgpr8
	s_and_saveexec_b32 s2, vcc_lo
	s_delay_alu instid0(SALU_CYCLE_1)
	s_xor_b32 s2, exec_lo, s2
; %bb.74:
	v_bfe_u32 v8, v7, 16, 1
	s_delay_alu instid0(VALU_DEP_1)
	v_add3_u32 v8, v7, v8, 0x7fff
                                        ; implicit-def: $vgpr7
; %bb.75:
	s_and_not1_saveexec_b32 s2, s2
; %bb.76:
	v_and_b32_e32 v8, 0xffff, v7
	v_or_b32_e32 v18, 0x10000, v7
	s_delay_alu instid0(VALU_DEP_2) | instskip(NEXT) | instid1(VALU_DEP_2)
	v_cmp_eq_u32_e32 vcc_lo, 0, v8
	v_cndmask_b32_e32 v8, v18, v7, vcc_lo
; %bb.77:
	s_or_b32 exec_lo, exec_lo, s2
	s_delay_alu instid0(VALU_DEP_1)
	v_lshrrev_b32_e32 v7, 16, v8
.LBB20_78:
	s_or_b32 exec_lo, exec_lo, s1
	s_delay_alu instid0(VALU_DEP_1) | instskip(SKIP_1) | instid1(VALU_DEP_2)
	v_lshlrev_b32_e32 v7, 16, v7
	v_lshlrev_b32_e32 v5, 16, v5
	v_or_b32_e32 v6, v7, v6
	v_add_nc_u32_e32 v7, 0x100, v0
	s_delay_alu instid0(VALU_DEP_3) | instskip(NEXT) | instid1(VALU_DEP_3)
	v_or_b32_e32 v3, v5, v3
	v_or_b32_e32 v4, v6, v4
	s_delay_alu instid0(VALU_DEP_3)
	v_cmp_gt_u32_e32 vcc_lo, s6, v7
	global_store_b64 v[1:2], v[3:4], off offset:256
	s_and_b32 exec_lo, exec_lo, vcc_lo
	s_cbranch_execz .LBB20_129
; %bb.79:
	v_mov_b32_e32 v3, 0
	v_mov_b32_e32 v4, 0
	s_and_saveexec_b32 s1, s0
	s_cbranch_execz .LBB20_85
; %bb.80:
	v_div_scale_f32 v3, null, v12, v12, v17
	s_delay_alu instid0(VALU_DEP_1) | instskip(SKIP_2) | instid1(VALU_DEP_1)
	v_rcp_f32_e32 v4, v3
	s_waitcnt_depctr 0xfff
	v_fma_f32 v5, -v3, v4, 1.0
	v_fmac_f32_e32 v4, v5, v4
	v_div_scale_f32 v5, vcc_lo, v17, v12, v17
	s_delay_alu instid0(VALU_DEP_1) | instskip(NEXT) | instid1(VALU_DEP_1)
	v_mul_f32_e32 v6, v5, v4
	v_fma_f32 v7, -v3, v6, v5
	s_delay_alu instid0(VALU_DEP_1) | instskip(NEXT) | instid1(VALU_DEP_1)
	v_fmac_f32_e32 v6, v7, v4
	v_fma_f32 v3, -v3, v6, v5
	s_delay_alu instid0(VALU_DEP_1) | instskip(NEXT) | instid1(VALU_DEP_1)
	v_div_fmas_f32 v3, v3, v4, v6
	v_div_fixup_f32 v3, v3, v12, v17
	s_delay_alu instid0(VALU_DEP_1) | instskip(NEXT) | instid1(VALU_DEP_1)
	v_and_b32_e32 v4, 0x7f800000, v3
	v_cmp_ne_u32_e32 vcc_lo, 0x7f800000, v4
                                        ; implicit-def: $vgpr4
	s_and_saveexec_b32 s2, vcc_lo
	s_delay_alu instid0(SALU_CYCLE_1)
	s_xor_b32 s2, exec_lo, s2
; %bb.81:
	v_bfe_u32 v4, v3, 16, 1
	s_delay_alu instid0(VALU_DEP_1)
	v_add3_u32 v4, v3, v4, 0x7fff
                                        ; implicit-def: $vgpr3
; %bb.82:
	s_and_not1_saveexec_b32 s2, s2
; %bb.83:
	v_and_b32_e32 v4, 0xffff, v3
	v_or_b32_e32 v5, 0x10000, v3
	s_delay_alu instid0(VALU_DEP_2) | instskip(NEXT) | instid1(VALU_DEP_2)
	v_cmp_eq_u32_e32 vcc_lo, 0, v4
	v_cndmask_b32_e32 v4, v5, v3, vcc_lo
; %bb.84:
	s_or_b32 exec_lo, exec_lo, s2
	s_delay_alu instid0(VALU_DEP_1)
	v_lshrrev_b32_e32 v3, 16, v4
	v_mov_b32_e32 v4, 0
.LBB20_85:
	s_or_b32 exec_lo, exec_lo, s1
	v_mov_b32_e32 v5, 0
	v_mov_b32_e32 v6, 0
	s_and_saveexec_b32 s1, s0
	s_cbranch_execz .LBB20_91
; %bb.86:
	v_div_scale_f32 v5, null, v12, v12, v16
	s_delay_alu instid0(VALU_DEP_1) | instskip(SKIP_2) | instid1(VALU_DEP_1)
	v_rcp_f32_e32 v6, v5
	s_waitcnt_depctr 0xfff
	v_fma_f32 v7, -v5, v6, 1.0
	v_fmac_f32_e32 v6, v7, v6
	v_div_scale_f32 v7, vcc_lo, v16, v12, v16
	s_delay_alu instid0(VALU_DEP_1) | instskip(NEXT) | instid1(VALU_DEP_1)
	v_mul_f32_e32 v8, v7, v6
	v_fma_f32 v17, -v5, v8, v7
	s_delay_alu instid0(VALU_DEP_1) | instskip(NEXT) | instid1(VALU_DEP_1)
	v_fmac_f32_e32 v8, v17, v6
	v_fma_f32 v5, -v5, v8, v7
	s_delay_alu instid0(VALU_DEP_1) | instskip(NEXT) | instid1(VALU_DEP_1)
	v_div_fmas_f32 v5, v5, v6, v8
	v_div_fixup_f32 v5, v5, v12, v16
	s_delay_alu instid0(VALU_DEP_1) | instskip(NEXT) | instid1(VALU_DEP_1)
	v_and_b32_e32 v6, 0x7f800000, v5
	v_cmp_ne_u32_e32 vcc_lo, 0x7f800000, v6
                                        ; implicit-def: $vgpr6
	s_and_saveexec_b32 s2, vcc_lo
	s_delay_alu instid0(SALU_CYCLE_1)
	s_xor_b32 s2, exec_lo, s2
; %bb.87:
	v_bfe_u32 v6, v5, 16, 1
	s_delay_alu instid0(VALU_DEP_1)
	v_add3_u32 v6, v5, v6, 0x7fff
                                        ; implicit-def: $vgpr5
; %bb.88:
	s_and_not1_saveexec_b32 s2, s2
; %bb.89:
	v_and_b32_e32 v6, 0xffff, v5
	v_or_b32_e32 v7, 0x10000, v5
	s_delay_alu instid0(VALU_DEP_2) | instskip(NEXT) | instid1(VALU_DEP_2)
	v_cmp_eq_u32_e32 vcc_lo, 0, v6
	v_cndmask_b32_e32 v6, v7, v5, vcc_lo
; %bb.90:
	s_or_b32 exec_lo, exec_lo, s2
	s_delay_alu instid0(VALU_DEP_1)
	v_lshrrev_b32_e32 v5, 16, v6
.LBB20_91:
	s_or_b32 exec_lo, exec_lo, s1
	v_mov_b32_e32 v6, 0
	v_mov_b32_e32 v7, 0
	s_and_saveexec_b32 s1, s0
	s_cbranch_execz .LBB20_97
; %bb.92:
	v_div_scale_f32 v6, null, v12, v12, v9
	s_delay_alu instid0(VALU_DEP_1) | instskip(SKIP_2) | instid1(VALU_DEP_1)
	v_rcp_f32_e32 v7, v6
	s_waitcnt_depctr 0xfff
	v_fma_f32 v8, -v6, v7, 1.0
	v_fmac_f32_e32 v7, v8, v7
	v_div_scale_f32 v8, vcc_lo, v9, v12, v9
	s_delay_alu instid0(VALU_DEP_1) | instskip(NEXT) | instid1(VALU_DEP_1)
	v_mul_f32_e32 v16, v8, v7
	v_fma_f32 v17, -v6, v16, v8
	s_delay_alu instid0(VALU_DEP_1) | instskip(NEXT) | instid1(VALU_DEP_1)
	v_fmac_f32_e32 v16, v17, v7
	v_fma_f32 v6, -v6, v16, v8
	s_delay_alu instid0(VALU_DEP_1) | instskip(NEXT) | instid1(VALU_DEP_1)
	v_div_fmas_f32 v6, v6, v7, v16
	v_div_fixup_f32 v6, v6, v12, v9
	s_delay_alu instid0(VALU_DEP_1) | instskip(NEXT) | instid1(VALU_DEP_1)
	v_and_b32_e32 v7, 0x7f800000, v6
	v_cmp_ne_u32_e32 vcc_lo, 0x7f800000, v7
                                        ; implicit-def: $vgpr7
	s_and_saveexec_b32 s2, vcc_lo
	s_delay_alu instid0(SALU_CYCLE_1)
	s_xor_b32 s2, exec_lo, s2
; %bb.93:
	v_bfe_u32 v7, v6, 16, 1
	s_delay_alu instid0(VALU_DEP_1)
	v_add3_u32 v7, v6, v7, 0x7fff
                                        ; implicit-def: $vgpr6
; %bb.94:
	s_and_not1_saveexec_b32 s2, s2
; %bb.95:
	v_and_b32_e32 v7, 0xffff, v6
	v_or_b32_e32 v8, 0x10000, v6
	s_delay_alu instid0(VALU_DEP_2) | instskip(NEXT) | instid1(VALU_DEP_2)
	v_cmp_eq_u32_e32 vcc_lo, 0, v7
	v_cndmask_b32_e32 v7, v8, v6, vcc_lo
; %bb.96:
	s_or_b32 exec_lo, exec_lo, s2
	s_delay_alu instid0(VALU_DEP_1)
	v_lshrrev_b32_e32 v7, 16, v7
	v_mov_b32_e32 v6, 0
.LBB20_97:
	s_or_b32 exec_lo, exec_lo, s1
	v_mov_b32_e32 v8, 0
	v_mov_b32_e32 v9, 0
	s_and_saveexec_b32 s1, s0
	s_cbranch_execz .LBB20_103
; %bb.98:
	v_div_scale_f32 v8, null, v12, v12, v15
	s_delay_alu instid0(VALU_DEP_1) | instskip(SKIP_2) | instid1(VALU_DEP_1)
	v_rcp_f32_e32 v9, v8
	s_waitcnt_depctr 0xfff
	v_fma_f32 v16, -v8, v9, 1.0
	v_fmac_f32_e32 v9, v16, v9
	v_div_scale_f32 v16, vcc_lo, v15, v12, v15
	s_delay_alu instid0(VALU_DEP_1) | instskip(NEXT) | instid1(VALU_DEP_1)
	v_mul_f32_e32 v17, v16, v9
	v_fma_f32 v18, -v8, v17, v16
	s_delay_alu instid0(VALU_DEP_1) | instskip(NEXT) | instid1(VALU_DEP_1)
	v_fmac_f32_e32 v17, v18, v9
	v_fma_f32 v8, -v8, v17, v16
	s_delay_alu instid0(VALU_DEP_1) | instskip(NEXT) | instid1(VALU_DEP_1)
	v_div_fmas_f32 v8, v8, v9, v17
	v_div_fixup_f32 v8, v8, v12, v15
	s_delay_alu instid0(VALU_DEP_1) | instskip(NEXT) | instid1(VALU_DEP_1)
	v_and_b32_e32 v9, 0x7f800000, v8
	v_cmp_ne_u32_e32 vcc_lo, 0x7f800000, v9
                                        ; implicit-def: $vgpr9
	s_and_saveexec_b32 s2, vcc_lo
	s_delay_alu instid0(SALU_CYCLE_1)
	s_xor_b32 s2, exec_lo, s2
; %bb.99:
	v_bfe_u32 v9, v8, 16, 1
	s_delay_alu instid0(VALU_DEP_1)
	v_add3_u32 v9, v8, v9, 0x7fff
                                        ; implicit-def: $vgpr8
; %bb.100:
	s_and_not1_saveexec_b32 s2, s2
; %bb.101:
	v_and_b32_e32 v9, 0xffff, v8
	v_or_b32_e32 v15, 0x10000, v8
	s_delay_alu instid0(VALU_DEP_2) | instskip(NEXT) | instid1(VALU_DEP_2)
	v_cmp_eq_u32_e32 vcc_lo, 0, v9
	v_cndmask_b32_e32 v9, v15, v8, vcc_lo
; %bb.102:
	s_or_b32 exec_lo, exec_lo, s2
	s_delay_alu instid0(VALU_DEP_1)
	v_dual_mov_b32 v8, 0 :: v_dual_and_b32 v9, 0xffff0000, v9
.LBB20_103:
	s_or_b32 exec_lo, exec_lo, s1
	s_delay_alu instid0(VALU_DEP_1) | instskip(NEXT) | instid1(VALU_DEP_2)
	v_or_b32_e32 v6, v8, v6
	v_or_b32_e32 v7, v9, v7
	v_add_nc_u32_e32 v0, 0x180, v0
	s_delay_alu instid0(VALU_DEP_3) | instskip(NEXT) | instid1(VALU_DEP_3)
	v_lshl_or_b32 v5, v5, 16, v6
	v_or_b32_e32 v4, v7, v4
	s_delay_alu instid0(VALU_DEP_3) | instskip(NEXT) | instid1(VALU_DEP_3)
	v_cmp_gt_u32_e32 vcc_lo, s6, v0
	v_or_b32_e32 v3, v5, v3
	global_store_b64 v[1:2], v[3:4], off offset:512
	s_and_b32 exec_lo, exec_lo, vcc_lo
	s_cbranch_execz .LBB20_129
; %bb.104:
	v_mov_b32_e32 v3, 0
	v_mov_b32_e32 v4, 0
	s_and_saveexec_b32 s1, s0
	s_cbranch_execz .LBB20_110
; %bb.105:
	v_div_scale_f32 v0, null, v12, v12, v14
	s_delay_alu instid0(VALU_DEP_1) | instskip(SKIP_2) | instid1(VALU_DEP_1)
	v_rcp_f32_e32 v3, v0
	s_waitcnt_depctr 0xfff
	v_fma_f32 v4, -v0, v3, 1.0
	v_fmac_f32_e32 v3, v4, v3
	v_div_scale_f32 v4, vcc_lo, v14, v12, v14
	s_delay_alu instid0(VALU_DEP_1) | instskip(NEXT) | instid1(VALU_DEP_1)
	v_mul_f32_e32 v5, v4, v3
	v_fma_f32 v6, -v0, v5, v4
	s_delay_alu instid0(VALU_DEP_1) | instskip(NEXT) | instid1(VALU_DEP_1)
	v_fmac_f32_e32 v5, v6, v3
	v_fma_f32 v0, -v0, v5, v4
	s_delay_alu instid0(VALU_DEP_1) | instskip(NEXT) | instid1(VALU_DEP_1)
	v_div_fmas_f32 v0, v0, v3, v5
	v_div_fixup_f32 v0, v0, v12, v14
	s_delay_alu instid0(VALU_DEP_1) | instskip(NEXT) | instid1(VALU_DEP_1)
	v_and_b32_e32 v3, 0x7f800000, v0
	v_cmp_ne_u32_e32 vcc_lo, 0x7f800000, v3
                                        ; implicit-def: $vgpr3
	s_and_saveexec_b32 s2, vcc_lo
	s_delay_alu instid0(SALU_CYCLE_1)
	s_xor_b32 s2, exec_lo, s2
; %bb.106:
	v_bfe_u32 v3, v0, 16, 1
	s_delay_alu instid0(VALU_DEP_1)
	v_add3_u32 v3, v0, v3, 0x7fff
                                        ; implicit-def: $vgpr0
; %bb.107:
	s_and_not1_saveexec_b32 s2, s2
; %bb.108:
	v_and_b32_e32 v3, 0xffff, v0
	v_or_b32_e32 v4, 0x10000, v0
	s_delay_alu instid0(VALU_DEP_2) | instskip(NEXT) | instid1(VALU_DEP_2)
	v_cmp_eq_u32_e32 vcc_lo, 0, v3
	v_cndmask_b32_e32 v3, v4, v0, vcc_lo
; %bb.109:
	s_or_b32 exec_lo, exec_lo, s2
	s_delay_alu instid0(VALU_DEP_1)
	v_lshrrev_b32_e32 v3, 16, v3
	v_mov_b32_e32 v4, 0
.LBB20_110:
	s_or_b32 exec_lo, exec_lo, s1
	v_mov_b32_e32 v5, 0
	v_mov_b32_e32 v6, 0
	s_and_saveexec_b32 s1, s0
	s_cbranch_execz .LBB20_116
; %bb.111:
	v_div_scale_f32 v0, null, v12, v12, v13
	s_delay_alu instid0(VALU_DEP_1) | instskip(SKIP_2) | instid1(VALU_DEP_1)
	v_rcp_f32_e32 v5, v0
	s_waitcnt_depctr 0xfff
	v_fma_f32 v6, -v0, v5, 1.0
	v_fmac_f32_e32 v5, v6, v5
	v_div_scale_f32 v6, vcc_lo, v13, v12, v13
	s_delay_alu instid0(VALU_DEP_1) | instskip(NEXT) | instid1(VALU_DEP_1)
	v_mul_f32_e32 v7, v6, v5
	v_fma_f32 v8, -v0, v7, v6
	s_delay_alu instid0(VALU_DEP_1) | instskip(NEXT) | instid1(VALU_DEP_1)
	v_fmac_f32_e32 v7, v8, v5
	v_fma_f32 v0, -v0, v7, v6
	s_delay_alu instid0(VALU_DEP_1) | instskip(NEXT) | instid1(VALU_DEP_1)
	v_div_fmas_f32 v0, v0, v5, v7
	v_div_fixup_f32 v0, v0, v12, v13
	s_delay_alu instid0(VALU_DEP_1) | instskip(NEXT) | instid1(VALU_DEP_1)
	v_and_b32_e32 v5, 0x7f800000, v0
	v_cmp_ne_u32_e32 vcc_lo, 0x7f800000, v5
                                        ; implicit-def: $vgpr5
	s_and_saveexec_b32 s2, vcc_lo
	s_delay_alu instid0(SALU_CYCLE_1)
	s_xor_b32 s2, exec_lo, s2
; %bb.112:
	v_bfe_u32 v5, v0, 16, 1
	s_delay_alu instid0(VALU_DEP_1)
	v_add3_u32 v5, v0, v5, 0x7fff
                                        ; implicit-def: $vgpr0
; %bb.113:
	s_and_not1_saveexec_b32 s2, s2
; %bb.114:
	v_and_b32_e32 v5, 0xffff, v0
	v_or_b32_e32 v6, 0x10000, v0
	s_delay_alu instid0(VALU_DEP_2) | instskip(NEXT) | instid1(VALU_DEP_2)
	v_cmp_eq_u32_e32 vcc_lo, 0, v5
	v_cndmask_b32_e32 v5, v6, v0, vcc_lo
; %bb.115:
	s_or_b32 exec_lo, exec_lo, s2
	s_delay_alu instid0(VALU_DEP_1)
	v_dual_mov_b32 v6, 0 :: v_dual_and_b32 v5, 0xffff0000, v5
.LBB20_116:
	s_or_b32 exec_lo, exec_lo, s1
	v_mov_b32_e32 v7, 0
	v_mov_b32_e32 v8, 0
	s_and_saveexec_b32 s1, s0
	s_cbranch_execz .LBB20_122
; %bb.117:
	v_div_scale_f32 v0, null, v12, v12, v10
	s_delay_alu instid0(VALU_DEP_1) | instskip(SKIP_2) | instid1(VALU_DEP_1)
	v_rcp_f32_e32 v7, v0
	s_waitcnt_depctr 0xfff
	v_fma_f32 v8, -v0, v7, 1.0
	v_fmac_f32_e32 v7, v8, v7
	v_div_scale_f32 v8, vcc_lo, v10, v12, v10
	s_delay_alu instid0(VALU_DEP_1) | instskip(NEXT) | instid1(VALU_DEP_1)
	v_mul_f32_e32 v9, v8, v7
	v_fma_f32 v13, -v0, v9, v8
	s_delay_alu instid0(VALU_DEP_1) | instskip(NEXT) | instid1(VALU_DEP_1)
	v_fmac_f32_e32 v9, v13, v7
	v_fma_f32 v0, -v0, v9, v8
	s_delay_alu instid0(VALU_DEP_1) | instskip(NEXT) | instid1(VALU_DEP_1)
	v_div_fmas_f32 v0, v0, v7, v9
	v_div_fixup_f32 v0, v0, v12, v10
	s_delay_alu instid0(VALU_DEP_1) | instskip(NEXT) | instid1(VALU_DEP_1)
	v_and_b32_e32 v7, 0x7f800000, v0
	v_cmp_ne_u32_e32 vcc_lo, 0x7f800000, v7
                                        ; implicit-def: $vgpr7
	s_and_saveexec_b32 s2, vcc_lo
	s_delay_alu instid0(SALU_CYCLE_1)
	s_xor_b32 s2, exec_lo, s2
; %bb.118:
	v_bfe_u32 v7, v0, 16, 1
	s_delay_alu instid0(VALU_DEP_1)
	v_add3_u32 v7, v0, v7, 0x7fff
                                        ; implicit-def: $vgpr0
; %bb.119:
	s_and_not1_saveexec_b32 s2, s2
; %bb.120:
	v_and_b32_e32 v7, 0xffff, v0
	v_or_b32_e32 v8, 0x10000, v0
	s_delay_alu instid0(VALU_DEP_2) | instskip(NEXT) | instid1(VALU_DEP_2)
	v_cmp_eq_u32_e32 vcc_lo, 0, v7
	v_cndmask_b32_e32 v7, v8, v0, vcc_lo
; %bb.121:
	s_or_b32 exec_lo, exec_lo, s2
	s_delay_alu instid0(VALU_DEP_1)
	v_lshrrev_b32_e32 v8, 16, v7
	v_mov_b32_e32 v7, 0
.LBB20_122:
	s_or_b32 exec_lo, exec_lo, s1
	v_mov_b32_e32 v9, 0
	v_mov_b32_e32 v10, 0
	s_and_saveexec_b32 s1, s0
	s_cbranch_execz .LBB20_128
; %bb.123:
	v_div_scale_f32 v0, null, v12, v12, v11
	s_delay_alu instid0(VALU_DEP_1) | instskip(SKIP_2) | instid1(VALU_DEP_1)
	v_rcp_f32_e32 v9, v0
	s_waitcnt_depctr 0xfff
	v_fma_f32 v10, -v0, v9, 1.0
	v_fmac_f32_e32 v9, v10, v9
	v_div_scale_f32 v10, vcc_lo, v11, v12, v11
	s_delay_alu instid0(VALU_DEP_1) | instskip(NEXT) | instid1(VALU_DEP_1)
	v_mul_f32_e32 v13, v10, v9
	v_fma_f32 v14, -v0, v13, v10
	s_delay_alu instid0(VALU_DEP_1) | instskip(NEXT) | instid1(VALU_DEP_1)
	v_fmac_f32_e32 v13, v14, v9
	v_fma_f32 v0, -v0, v13, v10
	s_delay_alu instid0(VALU_DEP_1) | instskip(NEXT) | instid1(VALU_DEP_1)
	v_div_fmas_f32 v0, v0, v9, v13
	v_div_fixup_f32 v0, v0, v12, v11
	s_delay_alu instid0(VALU_DEP_1) | instskip(NEXT) | instid1(VALU_DEP_1)
	v_and_b32_e32 v9, 0x7f800000, v0
	v_cmp_ne_u32_e32 vcc_lo, 0x7f800000, v9
                                        ; implicit-def: $vgpr9
	s_and_saveexec_b32 s0, vcc_lo
	s_delay_alu instid0(SALU_CYCLE_1)
	s_xor_b32 s0, exec_lo, s0
; %bb.124:
	v_bfe_u32 v9, v0, 16, 1
	s_delay_alu instid0(VALU_DEP_1)
	v_add3_u32 v9, v0, v9, 0x7fff
                                        ; implicit-def: $vgpr0
; %bb.125:
	s_and_not1_saveexec_b32 s0, s0
; %bb.126:
	v_and_b32_e32 v9, 0xffff, v0
	v_or_b32_e32 v10, 0x10000, v0
	s_delay_alu instid0(VALU_DEP_2) | instskip(NEXT) | instid1(VALU_DEP_2)
	v_cmp_eq_u32_e32 vcc_lo, 0, v9
	v_cndmask_b32_e32 v9, v10, v0, vcc_lo
; %bb.127:
	s_or_b32 exec_lo, exec_lo, s0
	s_delay_alu instid0(VALU_DEP_1)
	v_dual_mov_b32 v9, 0 :: v_dual_and_b32 v10, 0xffff0000, v9
.LBB20_128:
	s_or_b32 exec_lo, exec_lo, s1
	s_delay_alu instid0(VALU_DEP_1) | instskip(NEXT) | instid1(VALU_DEP_2)
	v_or_b32_e32 v0, v10, v8
	v_or_b32_e32 v7, v9, v7
	s_delay_alu instid0(VALU_DEP_2) | instskip(NEXT) | instid1(VALU_DEP_2)
	v_or3_b32 v4, v0, v6, v4
	v_or3_b32 v3, v7, v5, v3
	global_store_b64 v[1:2], v[3:4], off offset:768
.LBB20_129:
	s_nop 0
	s_sendmsg sendmsg(MSG_DEALLOC_VGPRS)
	s_endpgm
	.section	.rodata,"a",@progbits
	.p2align	6, 0x0
	.amdhsa_kernel _Z34scaled_masked_softmax_warp_forwardI14__hip_bfloat16S0_fLi9EEvPT0_PKT_PKhT1_iii
		.amdhsa_group_segment_fixed_size 0
		.amdhsa_private_segment_fixed_size 0
		.amdhsa_kernarg_size 296
		.amdhsa_user_sgpr_count 13
		.amdhsa_user_sgpr_dispatch_ptr 0
		.amdhsa_user_sgpr_queue_ptr 0
		.amdhsa_user_sgpr_kernarg_segment_ptr 1
		.amdhsa_user_sgpr_dispatch_id 0
		.amdhsa_user_sgpr_private_segment_size 0
		.amdhsa_wavefront_size32 1
		.amdhsa_uses_dynamic_stack 0
		.amdhsa_enable_private_segment 0
		.amdhsa_system_sgpr_workgroup_id_x 1
		.amdhsa_system_sgpr_workgroup_id_y 1
		.amdhsa_system_sgpr_workgroup_id_z 1
		.amdhsa_system_sgpr_workgroup_info 0
		.amdhsa_system_vgpr_workitem_id 1
		.amdhsa_next_free_vgpr 73
		.amdhsa_next_free_sgpr 16
		.amdhsa_reserve_vcc 1
		.amdhsa_float_round_mode_32 0
		.amdhsa_float_round_mode_16_64 0
		.amdhsa_float_denorm_mode_32 3
		.amdhsa_float_denorm_mode_16_64 3
		.amdhsa_dx10_clamp 1
		.amdhsa_ieee_mode 1
		.amdhsa_fp16_overflow 0
		.amdhsa_workgroup_processor_mode 1
		.amdhsa_memory_ordered 1
		.amdhsa_forward_progress 0
		.amdhsa_shared_vgpr_count 0
		.amdhsa_exception_fp_ieee_invalid_op 0
		.amdhsa_exception_fp_denorm_src 0
		.amdhsa_exception_fp_ieee_div_zero 0
		.amdhsa_exception_fp_ieee_overflow 0
		.amdhsa_exception_fp_ieee_underflow 0
		.amdhsa_exception_fp_ieee_inexact 0
		.amdhsa_exception_int_div_zero 0
	.end_amdhsa_kernel
	.section	.text._Z34scaled_masked_softmax_warp_forwardI14__hip_bfloat16S0_fLi9EEvPT0_PKT_PKhT1_iii,"axG",@progbits,_Z34scaled_masked_softmax_warp_forwardI14__hip_bfloat16S0_fLi9EEvPT0_PKT_PKhT1_iii,comdat
.Lfunc_end20:
	.size	_Z34scaled_masked_softmax_warp_forwardI14__hip_bfloat16S0_fLi9EEvPT0_PKT_PKhT1_iii, .Lfunc_end20-_Z34scaled_masked_softmax_warp_forwardI14__hip_bfloat16S0_fLi9EEvPT0_PKT_PKhT1_iii
                                        ; -- End function
	.section	.AMDGPU.csdata,"",@progbits
; Kernel info:
; codeLenInByte = 7576
; NumSgprs: 18
; NumVgprs: 73
; ScratchSize: 0
; MemoryBound: 0
; FloatMode: 240
; IeeeMode: 1
; LDSByteSize: 0 bytes/workgroup (compile time only)
; SGPRBlocks: 2
; VGPRBlocks: 9
; NumSGPRsForWavesPerEU: 18
; NumVGPRsForWavesPerEU: 73
; Occupancy: 16
; WaveLimiterHint : 0
; COMPUTE_PGM_RSRC2:SCRATCH_EN: 0
; COMPUTE_PGM_RSRC2:USER_SGPR: 13
; COMPUTE_PGM_RSRC2:TRAP_HANDLER: 0
; COMPUTE_PGM_RSRC2:TGID_X_EN: 1
; COMPUTE_PGM_RSRC2:TGID_Y_EN: 1
; COMPUTE_PGM_RSRC2:TGID_Z_EN: 1
; COMPUTE_PGM_RSRC2:TIDIG_COMP_CNT: 1
	.section	.text._Z34scaled_masked_softmax_warp_forwardI14__hip_bfloat16S0_fLi10EEvPT0_PKT_PKhT1_iii,"axG",@progbits,_Z34scaled_masked_softmax_warp_forwardI14__hip_bfloat16S0_fLi10EEvPT0_PKT_PKhT1_iii,comdat
	.protected	_Z34scaled_masked_softmax_warp_forwardI14__hip_bfloat16S0_fLi10EEvPT0_PKT_PKhT1_iii ; -- Begin function _Z34scaled_masked_softmax_warp_forwardI14__hip_bfloat16S0_fLi10EEvPT0_PKT_PKhT1_iii
	.globl	_Z34scaled_masked_softmax_warp_forwardI14__hip_bfloat16S0_fLi10EEvPT0_PKT_PKhT1_iii
	.p2align	8
	.type	_Z34scaled_masked_softmax_warp_forwardI14__hip_bfloat16S0_fLi10EEvPT0_PKT_PKhT1_iii,@function
_Z34scaled_masked_softmax_warp_forwardI14__hip_bfloat16S0_fLi10EEvPT0_PKT_PKhT1_iii: ; @_Z34scaled_masked_softmax_warp_forwardI14__hip_bfloat16S0_fLi10EEvPT0_PKT_PKhT1_iii
; %bb.0:
	s_clause 0x2
	s_load_b32 s8, s[0:1], 0x34
	s_load_b128 s[4:7], s[0:1], 0x18
	s_load_b64 s[2:3], s[0:1], 0x28
	s_waitcnt lgkmcnt(0)
	s_lshr_b32 s8, s8, 16
	s_cmp_eq_u32 s7, 1
	s_mov_b32 s7, s13
	s_cbranch_scc1 .LBB21_2
; %bb.1:
	s_mul_i32 s7, s2, s15
	s_delay_alu instid0(SALU_CYCLE_1)
	s_add_i32 s7, s7, s13
.LBB21_2:
	s_mul_i32 s3, s3, s15
	v_bfe_u32 v3, v0, 10, 10
	s_add_i32 s3, s3, s14
	s_and_b32 s12, 0xffff, s8
	s_mul_i32 s2, s2, s3
	v_and_b32_e32 v0, 0x3ff, v0
	s_add_i32 s2, s2, s13
                                        ; implicit-def: $vgpr24
                                        ; implicit-def: $vgpr23
                                        ; implicit-def: $vgpr17
                                        ; implicit-def: $vgpr16
                                        ; implicit-def: $vgpr29
                                        ; implicit-def: $vgpr27
                                        ; implicit-def: $vgpr19
                                        ; implicit-def: $vgpr18
                                        ; implicit-def: $vgpr32
                                        ; implicit-def: $vgpr30
                                        ; implicit-def: $vgpr21
                                        ; implicit-def: $vgpr20
                                        ; implicit-def: $vgpr36
                                        ; implicit-def: $vgpr33
                                        ; implicit-def: $vgpr25
                                        ; implicit-def: $vgpr22
                                        ; implicit-def: $vgpr38
                                        ; implicit-def: $vgpr37
                                        ; implicit-def: $vgpr28
                                        ; implicit-def: $vgpr26
                                        ; implicit-def: $vgpr40
                                        ; implicit-def: $vgpr39
                                        ; implicit-def: $vgpr31
                                        ; implicit-def: $vgpr10
                                        ; implicit-def: $vgpr15
                                        ; implicit-def: $vgpr14
                                        ; implicit-def: $vgpr11
                                        ; implicit-def: $vgpr9
                                        ; implicit-def: $vgpr13
                                        ; implicit-def: $vgpr12
                                        ; implicit-def: $vgpr8
                                        ; implicit-def: $vgpr7
	s_delay_alu instid0(SALU_CYCLE_1) | instskip(NEXT) | instid1(VALU_DEP_2)
	v_mad_u64_u32 v[4:5], null, s2, s12, v[3:4]
	v_lshlrev_b32_e32 v0, 2, v0
	s_clause 0x1
	s_load_b128 s[8:11], s[0:1], 0x0
	s_load_b64 s[2:3], s[0:1], 0x10
	s_delay_alu instid0(VALU_DEP_1) | instskip(SKIP_1) | instid1(VALU_DEP_2)
	v_mad_u64_u32 v[1:2], null, v4, s6, v[0:1]
	v_cmp_gt_i32_e32 vcc_lo, s5, v4
	v_ashrrev_i32_e32 v2, 31, v1
	s_delay_alu instid0(VALU_DEP_1)
	v_lshlrev_b64 v[1:2], 1, v[1:2]
	s_and_saveexec_b32 s5, vcc_lo
	s_cbranch_execz .LBB21_52
; %bb.3:
	v_mad_u64_u32 v[4:5], null, s7, s12, v[3:4]
	s_waitcnt lgkmcnt(0)
	s_delay_alu instid0(VALU_DEP_2) | instskip(SKIP_2) | instid1(VALU_DEP_4)
	v_add_co_u32 v3, s0, s10, v1
	v_dual_mov_b32 v24, 0xff800000 :: v_dual_mov_b32 v23, 0xff800000
	v_dual_mov_b32 v17, 0xff800000 :: v_dual_mov_b32 v16, 0xff800000
	v_mad_u64_u32 v[5:6], null, v4, s6, v[0:1]
	v_add_co_ci_u32_e64 v4, s0, s11, v2, s0
	s_delay_alu instid0(VALU_DEP_2) | instskip(SKIP_1) | instid1(VALU_DEP_1)
	v_ashrrev_i32_e32 v6, 31, v5
	v_add_co_u32 v5, s1, s2, v5
	v_add_co_ci_u32_e64 v6, s1, s3, v6, s1
	s_mov_b32 s3, exec_lo
	v_cmpx_gt_i32_e64 s6, v0
	s_cbranch_execz .LBB21_9
; %bb.4:
	global_load_b32 v9, v[5:6], off
	global_load_b64 v[7:8], v[3:4], off
	v_dual_mov_b32 v16, 0xc61c4000 :: v_dual_mov_b32 v17, 0xc61c4000
	s_mov_b32 s1, exec_lo
	s_waitcnt vmcnt(1)
	v_lshrrev_b32_e32 v10, 16, v9
	s_delay_alu instid0(VALU_DEP_1) | instskip(NEXT) | instid1(VALU_DEP_1)
	v_and_b32_e32 v10, 0xff, v10
	v_cmpx_ne_u16_e32 1, v10
	s_cbranch_execz .LBB21_6
; %bb.5:
	s_waitcnt vmcnt(0)
	v_alignbit_b32 v10, v8, v7, 16
	s_delay_alu instid0(VALU_DEP_1) | instskip(NEXT) | instid1(VALU_DEP_1)
	v_and_b32_e32 v10, 0xffff0000, v10
	v_mul_f32_e32 v17, s4, v10
.LBB21_6:
	s_or_b32 exec_lo, exec_lo, s1
	v_lshrrev_b32_e32 v10, 8, v9
	s_waitcnt vmcnt(0)
	v_lshlrev_b32_e32 v11, 16, v7
	v_and_b32_e32 v12, 0xff, v9
	v_and_b32_e32 v13, 0xffff0000, v7
	v_lshrrev_b32_e32 v14, 24, v9
	s_delay_alu instid0(VALU_DEP_4) | instskip(NEXT) | instid1(VALU_DEP_4)
	v_dual_mul_f32 v7, s4, v11 :: v_dual_and_b32 v10, 0xff, v10
	v_cmp_ne_u16_e64 s0, 1, v12
	s_delay_alu instid0(VALU_DEP_4) | instskip(SKIP_1) | instid1(VALU_DEP_3)
	v_mul_f32_e32 v9, s4, v13
	s_mov_b32 s7, exec_lo
	v_cmp_ne_u16_e64 s1, 1, v10
	v_cmpx_ne_u16_e32 1, v14
; %bb.7:
	v_and_b32_e32 v8, 0xffff0000, v8
	s_delay_alu instid0(VALU_DEP_1)
	v_mul_f32_e32 v16, s4, v8
; %bb.8:
	s_or_b32 exec_lo, exec_lo, s7
	v_cndmask_b32_e64 v24, 0xc61c4000, v7, s0
	v_cndmask_b32_e64 v23, 0xc61c4000, v9, s1
.LBB21_9:
	s_or_b32 exec_lo, exec_lo, s3
	v_add_nc_u32_e32 v7, 0x80, v0
	v_dual_mov_b32 v29, 0xff800000 :: v_dual_mov_b32 v18, 0xff800000
	v_mov_b32_e32 v27, 0xff800000
	v_mov_b32_e32 v19, 0xff800000
	s_mov_b32 s3, exec_lo
	v_cmpx_gt_i32_e64 s6, v7
	s_cbranch_execz .LBB21_15
; %bb.10:
	global_load_b32 v9, v[5:6], off offset:128
	global_load_b64 v[7:8], v[3:4], off offset:256
	v_dual_mov_b32 v18, 0xc61c4000 :: v_dual_mov_b32 v19, 0xc61c4000
	s_mov_b32 s1, exec_lo
	s_waitcnt vmcnt(1)
	v_lshrrev_b32_e32 v10, 16, v9
	s_delay_alu instid0(VALU_DEP_1) | instskip(NEXT) | instid1(VALU_DEP_1)
	v_and_b32_e32 v10, 0xff, v10
	v_cmpx_ne_u16_e32 1, v10
	s_cbranch_execz .LBB21_12
; %bb.11:
	s_waitcnt vmcnt(0)
	v_alignbit_b32 v10, v8, v7, 16
	s_delay_alu instid0(VALU_DEP_1) | instskip(NEXT) | instid1(VALU_DEP_1)
	v_and_b32_e32 v10, 0xffff0000, v10
	v_mul_f32_e32 v19, s4, v10
.LBB21_12:
	s_or_b32 exec_lo, exec_lo, s1
	v_lshrrev_b32_e32 v10, 8, v9
	s_waitcnt vmcnt(0)
	v_lshlrev_b32_e32 v11, 16, v7
	v_and_b32_e32 v12, 0xff, v9
	v_and_b32_e32 v13, 0xffff0000, v7
	v_lshrrev_b32_e32 v14, 24, v9
	s_delay_alu instid0(VALU_DEP_4) | instskip(NEXT) | instid1(VALU_DEP_4)
	v_dual_mul_f32 v7, s4, v11 :: v_dual_and_b32 v10, 0xff, v10
	v_cmp_ne_u16_e64 s0, 1, v12
	s_delay_alu instid0(VALU_DEP_4) | instskip(SKIP_1) | instid1(VALU_DEP_3)
	v_mul_f32_e32 v9, s4, v13
	s_mov_b32 s7, exec_lo
	v_cmp_ne_u16_e64 s1, 1, v10
	v_cmpx_ne_u16_e32 1, v14
; %bb.13:
	v_and_b32_e32 v8, 0xffff0000, v8
	s_delay_alu instid0(VALU_DEP_1)
	v_mul_f32_e32 v18, s4, v8
; %bb.14:
	s_or_b32 exec_lo, exec_lo, s7
	v_cndmask_b32_e64 v29, 0xc61c4000, v7, s0
	v_cndmask_b32_e64 v27, 0xc61c4000, v9, s1
.LBB21_15:
	s_or_b32 exec_lo, exec_lo, s3
	v_add_nc_u32_e32 v7, 0x100, v0
	v_dual_mov_b32 v32, 0xff800000 :: v_dual_mov_b32 v21, 0xff800000
	v_mov_b32_e32 v30, 0xff800000
	v_mov_b32_e32 v20, 0xff800000
	s_mov_b32 s3, exec_lo
	v_cmpx_gt_i32_e64 s6, v7
	s_cbranch_execz .LBB21_21
; %bb.16:
	global_load_b32 v9, v[5:6], off offset:256
	global_load_b64 v[7:8], v[3:4], off offset:512
	v_dual_mov_b32 v20, 0xc61c4000 :: v_dual_mov_b32 v21, 0xc61c4000
	s_mov_b32 s1, exec_lo
	s_waitcnt vmcnt(1)
	v_lshrrev_b32_e32 v10, 16, v9
	s_delay_alu instid0(VALU_DEP_1) | instskip(NEXT) | instid1(VALU_DEP_1)
	v_and_b32_e32 v10, 0xff, v10
	v_cmpx_ne_u16_e32 1, v10
	s_cbranch_execz .LBB21_18
; %bb.17:
	s_waitcnt vmcnt(0)
	v_alignbit_b32 v10, v8, v7, 16
	s_delay_alu instid0(VALU_DEP_1) | instskip(NEXT) | instid1(VALU_DEP_1)
	v_and_b32_e32 v10, 0xffff0000, v10
	v_mul_f32_e32 v21, s4, v10
.LBB21_18:
	s_or_b32 exec_lo, exec_lo, s1
	v_lshrrev_b32_e32 v10, 8, v9
	s_waitcnt vmcnt(0)
	v_lshlrev_b32_e32 v11, 16, v7
	v_and_b32_e32 v12, 0xff, v9
	v_and_b32_e32 v13, 0xffff0000, v7
	v_lshrrev_b32_e32 v14, 24, v9
	s_delay_alu instid0(VALU_DEP_4) | instskip(NEXT) | instid1(VALU_DEP_4)
	v_dual_mul_f32 v7, s4, v11 :: v_dual_and_b32 v10, 0xff, v10
	v_cmp_ne_u16_e64 s0, 1, v12
	s_delay_alu instid0(VALU_DEP_4) | instskip(SKIP_1) | instid1(VALU_DEP_3)
	v_mul_f32_e32 v9, s4, v13
	s_mov_b32 s7, exec_lo
	v_cmp_ne_u16_e64 s1, 1, v10
	v_cmpx_ne_u16_e32 1, v14
; %bb.19:
	v_and_b32_e32 v8, 0xffff0000, v8
	s_delay_alu instid0(VALU_DEP_1)
	v_mul_f32_e32 v20, s4, v8
; %bb.20:
	s_or_b32 exec_lo, exec_lo, s7
	v_cndmask_b32_e64 v32, 0xc61c4000, v7, s0
	v_cndmask_b32_e64 v30, 0xc61c4000, v9, s1
.LBB21_21:
	s_or_b32 exec_lo, exec_lo, s3
	v_add_nc_u32_e32 v7, 0x180, v0
	v_dual_mov_b32 v36, 0xff800000 :: v_dual_mov_b32 v33, 0xff800000
	v_dual_mov_b32 v25, 0xff800000 :: v_dual_mov_b32 v22, 0xff800000
	s_mov_b32 s3, exec_lo
	s_delay_alu instid0(VALU_DEP_3)
	v_cmpx_gt_i32_e64 s6, v7
	s_cbranch_execz .LBB21_27
; %bb.22:
	global_load_b32 v9, v[5:6], off offset:384
	global_load_b64 v[7:8], v[3:4], off offset:768
	v_dual_mov_b32 v22, 0xc61c4000 :: v_dual_mov_b32 v25, 0xc61c4000
	s_mov_b32 s1, exec_lo
	s_waitcnt vmcnt(1)
	v_lshrrev_b32_e32 v10, 16, v9
	s_delay_alu instid0(VALU_DEP_1) | instskip(NEXT) | instid1(VALU_DEP_1)
	v_and_b32_e32 v10, 0xff, v10
	v_cmpx_ne_u16_e32 1, v10
	s_cbranch_execz .LBB21_24
; %bb.23:
	s_waitcnt vmcnt(0)
	v_alignbit_b32 v10, v8, v7, 16
	s_delay_alu instid0(VALU_DEP_1) | instskip(NEXT) | instid1(VALU_DEP_1)
	v_and_b32_e32 v10, 0xffff0000, v10
	v_mul_f32_e32 v25, s4, v10
.LBB21_24:
	s_or_b32 exec_lo, exec_lo, s1
	v_lshrrev_b32_e32 v10, 8, v9
	s_waitcnt vmcnt(0)
	v_lshlrev_b32_e32 v11, 16, v7
	v_and_b32_e32 v12, 0xff, v9
	v_and_b32_e32 v13, 0xffff0000, v7
	v_lshrrev_b32_e32 v14, 24, v9
	s_delay_alu instid0(VALU_DEP_4) | instskip(NEXT) | instid1(VALU_DEP_4)
	v_dual_mul_f32 v7, s4, v11 :: v_dual_and_b32 v10, 0xff, v10
	v_cmp_ne_u16_e64 s0, 1, v12
	s_delay_alu instid0(VALU_DEP_4) | instskip(SKIP_1) | instid1(VALU_DEP_3)
	v_mul_f32_e32 v9, s4, v13
	s_mov_b32 s7, exec_lo
	v_cmp_ne_u16_e64 s1, 1, v10
	v_cmpx_ne_u16_e32 1, v14
; %bb.25:
	v_and_b32_e32 v8, 0xffff0000, v8
	s_delay_alu instid0(VALU_DEP_1)
	v_mul_f32_e32 v22, s4, v8
; %bb.26:
	s_or_b32 exec_lo, exec_lo, s7
	v_cndmask_b32_e64 v36, 0xc61c4000, v7, s0
	v_cndmask_b32_e64 v33, 0xc61c4000, v9, s1
.LBB21_27:
	s_or_b32 exec_lo, exec_lo, s3
	v_add_nc_u32_e32 v7, 0x200, v0
	v_dual_mov_b32 v38, 0xff800000 :: v_dual_mov_b32 v37, 0xff800000
	v_mov_b32_e32 v28, 0xff800000
	v_mov_b32_e32 v26, 0xff800000
	s_mov_b32 s3, exec_lo
	v_cmpx_gt_i32_e64 s6, v7
	s_cbranch_execz .LBB21_33
; %bb.28:
	global_load_b32 v9, v[5:6], off offset:512
	global_load_b64 v[7:8], v[3:4], off offset:1024
	v_mov_b32_e32 v26, 0xc61c4000
	v_mov_b32_e32 v28, 0xc61c4000
	s_mov_b32 s1, exec_lo
	s_waitcnt vmcnt(1)
	v_lshrrev_b32_e32 v10, 16, v9
	s_delay_alu instid0(VALU_DEP_1) | instskip(NEXT) | instid1(VALU_DEP_1)
	v_and_b32_e32 v10, 0xff, v10
	v_cmpx_ne_u16_e32 1, v10
	s_cbranch_execz .LBB21_30
; %bb.29:
	s_waitcnt vmcnt(0)
	v_alignbit_b32 v10, v8, v7, 16
	s_delay_alu instid0(VALU_DEP_1) | instskip(NEXT) | instid1(VALU_DEP_1)
	v_and_b32_e32 v10, 0xffff0000, v10
	v_mul_f32_e32 v28, s4, v10
.LBB21_30:
	s_or_b32 exec_lo, exec_lo, s1
	v_lshrrev_b32_e32 v10, 8, v9
	s_waitcnt vmcnt(0)
	v_lshlrev_b32_e32 v11, 16, v7
	v_and_b32_e32 v12, 0xff, v9
	v_and_b32_e32 v13, 0xffff0000, v7
	v_lshrrev_b32_e32 v14, 24, v9
	s_delay_alu instid0(VALU_DEP_4) | instskip(NEXT) | instid1(VALU_DEP_4)
	v_dual_mul_f32 v7, s4, v11 :: v_dual_and_b32 v10, 0xff, v10
	v_cmp_ne_u16_e64 s0, 1, v12
	s_delay_alu instid0(VALU_DEP_4) | instskip(SKIP_1) | instid1(VALU_DEP_3)
	v_mul_f32_e32 v9, s4, v13
	s_mov_b32 s7, exec_lo
	v_cmp_ne_u16_e64 s1, 1, v10
	v_cmpx_ne_u16_e32 1, v14
; %bb.31:
	v_and_b32_e32 v8, 0xffff0000, v8
	s_delay_alu instid0(VALU_DEP_1)
	v_mul_f32_e32 v26, s4, v8
; %bb.32:
	s_or_b32 exec_lo, exec_lo, s7
	v_cndmask_b32_e64 v38, 0xc61c4000, v7, s0
	v_cndmask_b32_e64 v37, 0xc61c4000, v9, s1
.LBB21_33:
	s_or_b32 exec_lo, exec_lo, s3
	v_add_nc_u32_e32 v7, 0x280, v0
	v_dual_mov_b32 v40, 0xff800000 :: v_dual_mov_b32 v39, 0xff800000
	v_dual_mov_b32 v31, 0xff800000 :: v_dual_mov_b32 v10, 0xff800000
	s_mov_b32 s3, exec_lo
	s_delay_alu instid0(VALU_DEP_3)
	v_cmpx_gt_i32_e64 s6, v7
	s_cbranch_execz .LBB21_39
; %bb.34:
	global_load_b32 v9, v[5:6], off offset:640
	global_load_b64 v[7:8], v[3:4], off offset:1280
	s_mov_b32 s1, exec_lo
	v_mov_b32_e32 v31, 0xc61c4000
	s_waitcnt vmcnt(1)
	v_lshrrev_b32_e32 v10, 16, v9
	s_delay_alu instid0(VALU_DEP_1) | instskip(SKIP_1) | instid1(VALU_DEP_2)
	v_and_b32_e32 v11, 0xff, v10
	v_mov_b32_e32 v10, 0xc61c4000
	v_cmpx_ne_u16_e32 1, v11
	s_cbranch_execz .LBB21_36
; %bb.35:
	s_waitcnt vmcnt(0)
	v_alignbit_b32 v11, v8, v7, 16
	s_delay_alu instid0(VALU_DEP_1) | instskip(NEXT) | instid1(VALU_DEP_1)
	v_and_b32_e32 v11, 0xffff0000, v11
	v_mul_f32_e32 v31, s4, v11
.LBB21_36:
	s_or_b32 exec_lo, exec_lo, s1
	v_lshrrev_b32_e32 v11, 8, v9
	v_and_b32_e32 v13, 0xff, v9
	s_waitcnt vmcnt(0)
	v_and_b32_e32 v14, 0xffff0000, v7
	v_lshlrev_b32_e32 v12, 16, v7
	v_lshrrev_b32_e32 v15, 24, v9
	v_and_b32_e32 v11, 0xff, v11
	v_cmp_ne_u16_e64 s0, 1, v13
	v_mul_f32_e32 v9, s4, v14
	v_mul_f32_e32 v7, s4, v12
	s_mov_b32 s7, exec_lo
	v_cmp_ne_u16_e64 s1, 1, v11
	v_cmpx_ne_u16_e32 1, v15
; %bb.37:
	v_and_b32_e32 v8, 0xffff0000, v8
	s_delay_alu instid0(VALU_DEP_1)
	v_mul_f32_e32 v10, s4, v8
; %bb.38:
	s_or_b32 exec_lo, exec_lo, s7
	v_cndmask_b32_e64 v40, 0xc61c4000, v7, s0
	v_cndmask_b32_e64 v39, 0xc61c4000, v9, s1
.LBB21_39:
	s_or_b32 exec_lo, exec_lo, s3
	v_add_nc_u32_e32 v7, 0x300, v0
	v_dual_mov_b32 v15, 0xff800000 :: v_dual_mov_b32 v14, 0xff800000
	v_mov_b32_e32 v11, 0xff800000
	v_mov_b32_e32 v9, 0xff800000
	s_mov_b32 s3, exec_lo
	v_cmpx_gt_i32_e64 s6, v7
	s_cbranch_execz .LBB21_45
; %bb.40:
	global_load_b32 v12, v[5:6], off offset:768
	global_load_b64 v[7:8], v[3:4], off offset:1536
	s_waitcnt vmcnt(1)
	v_lshrrev_b32_e32 v9, 16, v12
	s_delay_alu instid0(VALU_DEP_1) | instskip(SKIP_1) | instid1(VALU_DEP_2)
	v_and_b32_e32 v11, 0xff, v9
	v_mov_b32_e32 v9, 0xc61c4000
	v_cmp_ne_u16_e64 s0, 1, v11
	v_mov_b32_e32 v11, 0xc61c4000
	s_delay_alu instid0(VALU_DEP_2)
	s_and_saveexec_b32 s1, s0
	s_cbranch_execz .LBB21_42
; %bb.41:
	s_waitcnt vmcnt(0)
	v_alignbit_b32 v11, v8, v7, 16
	s_delay_alu instid0(VALU_DEP_1) | instskip(NEXT) | instid1(VALU_DEP_1)
	v_and_b32_e32 v11, 0xffff0000, v11
	v_mul_f32_e32 v11, s4, v11
.LBB21_42:
	s_or_b32 exec_lo, exec_lo, s1
	v_lshrrev_b32_e32 v13, 8, v12
	s_waitcnt vmcnt(0)
	v_lshlrev_b32_e32 v14, 16, v7
	v_and_b32_e32 v34, 0xffff0000, v7
	v_lshrrev_b32_e32 v35, 24, v12
	s_mov_b32 s7, exec_lo
	v_and_b32_e32 v13, 0xff, v13
	v_mul_f32_e32 v7, s4, v14
	v_dual_mul_f32 v12, s4, v34 :: v_dual_and_b32 v15, 0xff, v12
	s_delay_alu instid0(VALU_DEP_3) | instskip(NEXT) | instid1(VALU_DEP_2)
	v_cmp_ne_u16_e64 s1, 1, v13
	v_cmp_ne_u16_e64 s0, 1, v15
	v_cmpx_ne_u16_e32 1, v35
; %bb.43:
	v_and_b32_e32 v8, 0xffff0000, v8
	s_delay_alu instid0(VALU_DEP_1)
	v_mul_f32_e32 v9, s4, v8
; %bb.44:
	s_or_b32 exec_lo, exec_lo, s7
	v_cndmask_b32_e64 v15, 0xc61c4000, v7, s0
	v_cndmask_b32_e64 v14, 0xc61c4000, v12, s1
.LBB21_45:
	s_or_b32 exec_lo, exec_lo, s3
	v_add_nc_u32_e32 v7, 0x380, v0
	v_dual_mov_b32 v13, 0xff800000 :: v_dual_mov_b32 v12, 0xff800000
	v_mov_b32_e32 v8, 0xff800000
	s_delay_alu instid0(VALU_DEP_3) | instskip(SKIP_1) | instid1(VALU_DEP_2)
	v_cmp_gt_i32_e64 s0, s6, v7
	v_mov_b32_e32 v7, 0xff800000
	s_and_saveexec_b32 s3, s0
	s_cbranch_execz .LBB21_51
; %bb.46:
	global_load_b32 v5, v[5:6], off offset:896
	global_load_b64 v[3:4], v[3:4], off offset:1792
	v_dual_mov_b32 v7, 0xc61c4000 :: v_dual_mov_b32 v8, 0xc61c4000
	s_mov_b32 s1, exec_lo
	s_waitcnt vmcnt(1)
	v_lshrrev_b32_e32 v6, 16, v5
	s_delay_alu instid0(VALU_DEP_1) | instskip(NEXT) | instid1(VALU_DEP_1)
	v_and_b32_e32 v6, 0xff, v6
	v_cmpx_ne_u16_e32 1, v6
	s_cbranch_execz .LBB21_48
; %bb.47:
	s_waitcnt vmcnt(0)
	v_alignbit_b32 v6, v4, v3, 16
	s_delay_alu instid0(VALU_DEP_1) | instskip(NEXT) | instid1(VALU_DEP_1)
	v_and_b32_e32 v6, 0xffff0000, v6
	v_mul_f32_e32 v8, s4, v6
.LBB21_48:
	s_or_b32 exec_lo, exec_lo, s1
	v_lshrrev_b32_e32 v6, 8, v5
	v_and_b32_e32 v13, 0xff, v5
	s_waitcnt vmcnt(0)
	v_and_b32_e32 v34, 0xffff0000, v3
	v_lshlrev_b32_e32 v12, 16, v3
	v_lshrrev_b32_e32 v35, 24, v5
	v_and_b32_e32 v6, 0xff, v6
	v_cmp_ne_u16_e64 s0, 1, v13
	v_mul_f32_e32 v5, s4, v34
	v_mul_f32_e32 v3, s4, v12
	v_cmp_ne_u16_e64 s2, 1, v35
	v_cmp_ne_u16_e64 s1, 1, v6
	s_delay_alu instid0(VALU_DEP_2) | instskip(NEXT) | instid1(SALU_CYCLE_1)
	s_and_saveexec_b32 s7, s2
	s_xor_b32 s2, exec_lo, s7
; %bb.49:
	v_and_b32_e32 v4, 0xffff0000, v4
	s_delay_alu instid0(VALU_DEP_1)
	v_mul_f32_e32 v7, s4, v4
; %bb.50:
	s_or_b32 exec_lo, exec_lo, s2
	v_cndmask_b32_e64 v13, 0xc61c4000, v3, s0
	v_cndmask_b32_e64 v12, 0xc61c4000, v5, s1
.LBB21_51:
	s_or_b32 exec_lo, exec_lo, s3
.LBB21_52:
	s_delay_alu instid0(SALU_CYCLE_1) | instskip(SKIP_2) | instid1(VALU_DEP_2)
	s_or_b32 exec_lo, exec_lo, s5
	v_cmp_gt_f32_e64 s0, v24, v23
	v_mbcnt_lo_u32_b32 v34, -1, 0
	v_cndmask_b32_e64 v3, v23, v24, s0
	s_delay_alu instid0(VALU_DEP_2) | instskip(NEXT) | instid1(VALU_DEP_2)
	v_xor_b32_e32 v4, 16, v34
	v_cmp_gt_f32_e64 s0, v3, v17
	s_delay_alu instid0(VALU_DEP_1) | instskip(NEXT) | instid1(VALU_DEP_1)
	v_cndmask_b32_e64 v3, v17, v3, s0
	v_cmp_gt_f32_e64 s0, v3, v16
	s_delay_alu instid0(VALU_DEP_1) | instskip(NEXT) | instid1(VALU_DEP_1)
	v_cndmask_b32_e64 v3, v16, v3, s0
	;; [unrolled: 3-line block ×27, first 2 shown]
	v_cmp_gt_f32_e64 s0, v3, v12
	s_delay_alu instid0(VALU_DEP_1) | instskip(SKIP_1) | instid1(VALU_DEP_1)
	v_cndmask_b32_e64 v3, v12, v3, s0
	v_cmp_gt_i32_e64 s0, 32, v4
	v_cndmask_b32_e64 v4, v34, v4, s0
	s_delay_alu instid0(VALU_DEP_3) | instskip(NEXT) | instid1(VALU_DEP_1)
	v_cmp_gt_f32_e64 s0, v3, v8
	v_cndmask_b32_e64 v5, v8, v3, s0
	s_delay_alu instid0(VALU_DEP_3) | instskip(SKIP_1) | instid1(VALU_DEP_3)
	v_lshlrev_b32_e32 v3, 2, v4
	v_xor_b32_e32 v4, 8, v34
	v_cmp_gt_f32_e64 s0, v5, v7
	s_delay_alu instid0(VALU_DEP_1) | instskip(NEXT) | instid1(VALU_DEP_3)
	v_cndmask_b32_e64 v5, v7, v5, s0
	v_cmp_gt_i32_e64 s0, 32, v4
	ds_bpermute_b32 v6, v3, v5
	v_cndmask_b32_e64 v4, v34, v4, s0
	s_delay_alu instid0(VALU_DEP_1) | instskip(SKIP_2) | instid1(VALU_DEP_1)
	v_lshlrev_b32_e32 v4, 2, v4
	s_waitcnt lgkmcnt(0)
	v_cmp_lt_f32_e64 s0, v5, v6
	v_cndmask_b32_e64 v6, v5, v6, s0
	v_xor_b32_e32 v5, 4, v34
	ds_bpermute_b32 v35, v4, v6
	v_cmp_gt_i32_e64 s0, 32, v5
	s_delay_alu instid0(VALU_DEP_1) | instskip(NEXT) | instid1(VALU_DEP_1)
	v_cndmask_b32_e64 v5, v34, v5, s0
	v_lshlrev_b32_e32 v5, 2, v5
	s_waitcnt lgkmcnt(0)
	v_cmp_lt_f32_e64 s0, v6, v35
	s_delay_alu instid0(VALU_DEP_1) | instskip(SKIP_3) | instid1(VALU_DEP_1)
	v_cndmask_b32_e64 v35, v6, v35, s0
	v_xor_b32_e32 v6, 2, v34
	ds_bpermute_b32 v41, v5, v35
	v_cmp_gt_i32_e64 s0, 32, v6
	v_cndmask_b32_e64 v6, v34, v6, s0
	s_delay_alu instid0(VALU_DEP_1) | instskip(SKIP_2) | instid1(VALU_DEP_1)
	v_lshlrev_b32_e32 v6, 2, v6
	s_waitcnt lgkmcnt(0)
	v_cmp_lt_f32_e64 s0, v35, v41
	v_cndmask_b32_e64 v41, v35, v41, s0
	v_xor_b32_e32 v35, 1, v34
	ds_bpermute_b32 v42, v6, v41
	v_cmp_gt_i32_e64 s0, 32, v35
	s_delay_alu instid0(VALU_DEP_1) | instskip(NEXT) | instid1(VALU_DEP_1)
	v_cndmask_b32_e64 v34, v34, v35, s0
	v_lshlrev_b32_e32 v35, 2, v34
	s_waitcnt lgkmcnt(0)
	v_cmp_lt_f32_e64 s0, v41, v42
	s_delay_alu instid0(VALU_DEP_1) | instskip(SKIP_3) | instid1(VALU_DEP_1)
	v_cndmask_b32_e64 v34, v41, v42, s0
	ds_bpermute_b32 v41, v35, v34
	s_waitcnt lgkmcnt(0)
	v_cmp_lt_f32_e64 s0, v34, v41
	v_cndmask_b32_e64 v34, v34, v41, s0
	s_delay_alu instid0(VALU_DEP_1)
	v_sub_f32_e32 v24, v24, v34
	v_sub_f32_e32 v51, v39, v34
	;; [unrolled: 1-line block ×5, first 2 shown]
	v_mul_f32_e32 v26, 0x3fb8aa3b, v24
	v_sub_f32_e32 v32, v32, v34
	v_sub_f32_e32 v19, v19, v34
	;; [unrolled: 1-line block ×4, first 2 shown]
	v_fma_f32 v64, 0x3fb8aa3b, v24, -v26
	v_sub_f32_e32 v46, v38, v34
	v_sub_f32_e32 v17, v17, v34
	;; [unrolled: 1-line block ×3, first 2 shown]
	v_mul_f32_e32 v28, 0x3fb8aa3b, v23
	v_fmac_f32_e32 v64, 0x32a5705f, v24
	v_dual_mul_f32 v62, 0x3fb8aa3b, v51 :: v_dual_sub_f32 v47, v37, v34
	v_dual_mul_f32 v60, 0x3fb8aa3b, v49 :: v_dual_sub_f32 v25, v25, v34
	v_rndne_f32_e32 v65, v26
	v_fma_f32 v66, 0x3fb8aa3b, v23, -v28
	s_delay_alu instid0(VALU_DEP_4) | instskip(NEXT) | instid1(VALU_DEP_4)
	v_mul_f32_e32 v58, 0x3fb8aa3b, v47
	v_dual_sub_f32 v44, v33, v34 :: v_dual_mul_f32 v55, 0x3fb8aa3b, v25
	v_mul_f32_e32 v33, 0x3fb8aa3b, v16
	v_sub_f32_e32 v21, v21, v34
	v_dual_mul_f32 v39, 0x3fb8aa3b, v18 :: v_dual_sub_f32 v26, v26, v65
	s_delay_alu instid0(VALU_DEP_4) | instskip(NEXT) | instid1(VALU_DEP_3)
	v_dual_mul_f32 v54, 0x3fb8aa3b, v44 :: v_dual_sub_f32 v43, v36, v34
	v_mul_f32_e32 v42, 0x3fb8aa3b, v21
	v_rndne_f32_e32 v71, v33
	v_sub_f32_e32 v50, v40, v34
	v_dual_mul_f32 v40, 0x3fb8aa3b, v32 :: v_dual_sub_f32 v29, v29, v34
	v_dual_mul_f32 v38, 0x3fb8aa3b, v19 :: v_dual_sub_f32 v27, v27, v34
	v_dual_sub_f32 v20, v20, v34 :: v_dual_mul_f32 v53, 0x3fb8aa3b, v43
	v_sub_f32_e32 v30, v30, v34
	s_delay_alu instid0(VALU_DEP_3) | instskip(NEXT) | instid1(VALU_DEP_3)
	v_dual_mul_f32 v36, 0x3fb8aa3b, v29 :: v_dual_mul_f32 v37, 0x3fb8aa3b, v27
	v_mul_f32_e32 v45, 0x3fb8aa3b, v20
	v_rndne_f32_e32 v67, v28
	s_delay_alu instid0(VALU_DEP_4)
	v_dual_mul_f32 v41, 0x3fb8aa3b, v30 :: v_dual_add_f32 v26, v26, v64
	v_fma_f32 v70, 0x3fb8aa3b, v16, -v33
	v_rndne_f32_e32 v75, v37
	v_rndne_f32_e32 v79, v39
	v_mul_f32_e32 v31, 0x3fb8aa3b, v17
	v_fma_f32 v74, 0x3fb8aa3b, v27, -v37
	v_fma_f32 v78, 0x3fb8aa3b, v18, -v39
	v_rndne_f32_e32 v81, v40
	v_fma_f32 v82, 0x3fb8aa3b, v30, -v41
	v_rndne_f32_e32 v83, v41
	;; [unrolled: 2-line block ×3, first 2 shown]
	v_sub_f32_e32 v28, v28, v67
	v_dual_fmac_f32 v70, 0x32a5705f, v16 :: v_dual_sub_f32 v39, v39, v79
	v_sub_f32_e32 v33, v33, v71
	v_fmac_f32_e32 v66, 0x32a5705f, v23
	v_sub_f32_e32 v37, v37, v75
	v_mul_f32_e32 v63, 0x3fb8aa3b, v52
	v_mul_f32_e32 v57, 0x3fb8aa3b, v46
	v_fma_f32 v68, 0x3fb8aa3b, v17, -v31
	v_rndne_f32_e32 v69, v31
	v_fma_f32 v76, 0x3fb8aa3b, v19, -v38
	v_fma_f32 v80, 0x3fb8aa3b, v32, -v40
	;; [unrolled: 1-line block ×3, first 2 shown]
	v_rndne_f32_e32 v89, v53
	v_add_f32_e32 v33, v33, v70
	v_dual_add_f32 v28, v28, v66 :: v_dual_sub_f32 v41, v41, v83
	v_dual_sub_f32 v40, v40, v81 :: v_dual_sub_f32 v55, v55, v64
	v_dual_fmac_f32 v92, 0x32a5705f, v25 :: v_dual_sub_f32 v11, v11, v34
	v_fmac_f32_e32 v82, 0x32a5705f, v30
	v_fma_f32 v72, 0x3fb8aa3b, v29, -v36
	v_rndne_f32_e32 v73, v36
	s_delay_alu instid0(VALU_DEP_4)
	v_add_f32_e32 v55, v55, v92
	v_rndne_f32_e32 v77, v38
	v_fma_f32 v86, 0x3fb8aa3b, v20, -v45
	v_rndne_f32_e32 v87, v45
	v_dual_sub_f32 v31, v31, v69 :: v_dual_sub_f32 v22, v22, v34
	v_mul_f32_e32 v59, 0x3fb8aa3b, v48
	v_dual_fmac_f32 v74, 0x32a5705f, v27 :: v_dual_add_f32 v41, v41, v82
	v_fmac_f32_e32 v68, 0x32a5705f, v17
	v_dual_fmac_f32 v76, 0x32a5705f, v19 :: v_dual_sub_f32 v53, v53, v89
	v_fmac_f32_e32 v88, 0x32a5705f, v43
	v_fmac_f32_e32 v78, 0x32a5705f, v18
	v_exp_f32_e32 v26, v26
	v_dual_mul_f32 v61, 0x3fb8aa3b, v50 :: v_dual_sub_f32 v36, v36, v73
	v_dual_sub_f32 v38, v38, v77 :: v_dual_sub_f32 v45, v45, v87
	v_add_f32_e32 v37, v37, v74
	v_dual_mul_f32 v56, 0x3fb8aa3b, v22 :: v_dual_add_f32 v31, v31, v68
	v_fmac_f32_e32 v86, 0x32a5705f, v20
	v_dual_add_f32 v53, v53, v88 :: v_dual_fmac_f32 v72, 0x32a5705f, v29
	v_add_f32_e32 v39, v39, v78
	v_fma_f32 v78, 0x3fb8aa3b, v48, -v59
	v_cvt_i32_f32_e32 v65, v65
	v_exp_f32_e32 v28, v28
	v_fma_f32 v84, 0x3fb8aa3b, v21, -v42
	v_rndne_f32_e32 v85, v42
	v_rndne_f32_e32 v91, v54
	v_dual_add_f32 v36, v36, v72 :: v_dual_add_f32 v45, v45, v86
	v_fma_f32 v86, 0x3fb8aa3b, v50, -v61
	v_rndne_f32_e32 v88, v61
	v_cvt_i32_f32_e32 v67, v67
	v_fmac_f32_e32 v78, 0x32a5705f, v48
	v_fmac_f32_e32 v80, 0x32a5705f, v32
	v_exp_f32_e32 v31, v31
	v_ldexp_f32 v26, v26, v65
	v_cmp_ngt_f32_e64 s0, 0xc2ce8ed0, v24
	v_fma_f32 v90, 0x3fb8aa3b, v44, -v54
	v_rndne_f32_e32 v72, v57
	v_fmac_f32_e32 v84, 0x32a5705f, v21
	v_dual_sub_f32 v54, v54, v91 :: v_dual_sub_f32 v61, v61, v88
	v_cvt_i32_f32_e32 v69, v69
	v_fmac_f32_e32 v86, 0x32a5705f, v50
	v_add_f32_e32 v40, v40, v80
	v_rndne_f32_e32 v80, v59
	v_sub_f32_e32 v42, v42, v85
	v_ldexp_f32 v28, v28, v67
	v_cndmask_b32_e64 v26, 0, v26, s0
	v_cmp_ngt_f32_e64 s0, 0xc2ce8ed0, v23
	v_sub_f32_e32 v59, v59, v80
	v_fma_f32 v70, 0x3fb8aa3b, v46, -v57
	v_sub_f32_e32 v57, v57, v72
	v_exp_f32_e32 v33, v33
	v_exp_f32_e32 v45, v45
	v_ldexp_f32 v31, v31, v69
	v_cndmask_b32_e64 v28, 0, v28, s0
	v_cmp_ngt_f32_e64 s0, 0xc2ce8ed0, v17
	v_sub_f32_e32 v10, v10, v34
	v_add_f32_e32 v42, v42, v84
	v_cvt_i32_f32_e32 v71, v71
	v_cvt_i32_f32_e32 v87, v87
	v_cndmask_b32_e64 v31, 0, v31, s0
	v_cmp_nlt_f32_e64 s0, 0x42b17218, v24
	v_exp_f32_e32 v42, v42
	v_cvt_i32_f32_e32 v85, v85
	v_fmac_f32_e32 v70, 0x32a5705f, v46
	v_ldexp_f32 v33, v33, v71
	v_ldexp_f32 v71, v45, v87
	v_cndmask_b32_e64 v45, 0x7f800000, v26, s0
	v_cmp_nlt_f32_e64 s0, 0x42b17218, v23
	v_dual_add_f32 v38, v38, v76 :: v_dual_add_f32 v57, v57, v70
	v_exp_f32_e32 v36, v36
	v_exp_f32_e32 v41, v41
	v_ldexp_f32 v70, v42, v85
	v_cndmask_b32_e64 v42, 0x7f800000, v28, s0
	v_cmp_ngt_f32_e64 s0, 0xc2ce8ed0, v16
	v_cvt_i32_f32_e32 v73, v73
	v_cvt_i32_f32_e32 v83, v83
	v_add_f32_e32 v61, v61, v86
	v_exp_f32_e32 v37, v37
	v_cndmask_b32_e64 v23, 0, v33, s0
	v_cmp_nlt_f32_e64 s0, 0x42b17218, v17
	v_exp_f32_e32 v40, v40
	v_ldexp_f32 v36, v36, v73
	v_ldexp_f32 v69, v41, v83
	v_cvt_i32_f32_e32 v75, v75
	v_cndmask_b32_e64 v41, 0x7f800000, v31, s0
	v_cmp_ngt_f32_e64 s0, 0xc2ce8ed0, v29
	v_cvt_i32_f32_e32 v81, v81
	v_exp_f32_e32 v38, v38
	v_exp_f32_e32 v39, v39
	v_ldexp_f32 v37, v37, v75
	v_cndmask_b32_e64 v24, 0, v36, s0
	v_cmp_nlt_f32_e64 s0, 0x42b17218, v16
	v_ldexp_f32 v67, v40, v81
	v_add_f32_e32 v17, v45, v42
	v_cvt_i32_f32_e32 v77, v77
	v_cvt_i32_f32_e32 v79, v79
	v_cndmask_b32_e64 v40, 0x7f800000, v23, s0
	v_cmp_ngt_f32_e64 s0, 0xc2ce8ed0, v27
	v_add_f32_e32 v16, v17, v41
	v_ldexp_f32 v38, v38, v77
	v_ldexp_f32 v65, v39, v79
	v_dual_fmac_f32 v90, 0x32a5705f, v44 :: v_dual_sub_f32 v15, v15, v34
	v_cndmask_b32_e64 v17, 0, v37, s0
	v_cmp_nlt_f32_e64 s0, 0x42b17218, v29
	v_exp_f32_e32 v53, v53
	s_delay_alu instid0(VALU_DEP_3)
	v_add_f32_e32 v54, v54, v90
	v_cvt_i32_f32_e32 v89, v89
	v_fma_f32 v66, 0x3fb8aa3b, v22, -v56
	v_cndmask_b32_e64 v39, 0x7f800000, v24, s0
	v_cmp_ngt_f32_e64 s0, 0xc2ce8ed0, v19
	v_exp_f32_e32 v54, v54
	v_rndne_f32_e32 v68, v56
	v_cvt_i32_f32_e32 v91, v91
	v_fmac_f32_e32 v66, 0x32a5705f, v22
	v_cndmask_b32_e64 v23, 0, v38, s0
	v_cmp_nlt_f32_e64 s0, 0x42b17218, v27
	v_ldexp_f32 v53, v53, v89
	v_sub_f32_e32 v56, v56, v68
	v_exp_f32_e32 v55, v55
	v_cvt_i32_f32_e32 v64, v64
	v_cndmask_b32_e64 v38, 0x7f800000, v17, s0
	v_cmp_ngt_f32_e64 s0, 0xc2ce8ed0, v18
	v_ldexp_f32 v54, v54, v91
	v_add_f32_e32 v56, v56, v66
	v_fma_f32 v74, 0x3fb8aa3b, v47, -v58
	v_rndne_f32_e32 v76, v58
	v_cndmask_b32_e64 v17, 0, v65, s0
	v_cmp_nlt_f32_e64 s0, 0x42b17218, v19
	v_exp_f32_e32 v56, v56
	v_ldexp_f32 v55, v55, v64
	v_cvt_i32_f32_e32 v68, v68
	v_rndne_f32_e32 v92, v62
	v_cndmask_b32_e64 v37, 0x7f800000, v23, s0
	v_cmp_ngt_f32_e64 s0, 0xc2ce8ed0, v32
	v_exp_f32_e32 v57, v57
	v_sub_f32_e32 v14, v14, v34
	v_fmac_f32_e32 v74, 0x32a5705f, v47
	v_sub_f32_e32 v58, v58, v76
	v_cndmask_b32_e64 v19, 0, v67, s0
	v_cmp_nlt_f32_e64 s0, 0x42b17218, v18
	v_ldexp_f32 v56, v56, v68
	v_fma_f32 v90, 0x3fb8aa3b, v51, -v62
	v_cvt_i32_f32_e32 v72, v72
	v_dual_sub_f32 v62, v62, v92 :: v_dual_sub_f32 v13, v13, v34
	v_cndmask_b32_e64 v36, 0x7f800000, v17, s0
	v_cmp_ngt_f32_e64 s0, 0xc2ce8ed0, v30
	v_add_f32_e32 v58, v58, v74
	v_ldexp_f32 v57, v57, v72
	v_fma_f32 v82, 0x3fb8aa3b, v49, -v60
	v_rndne_f32_e32 v84, v60
	v_cndmask_b32_e64 v17, 0, v69, s0
	v_cmp_nlt_f32_e64 s0, 0x42b17218, v32
	v_exp_f32_e32 v58, v58
	v_cvt_i32_f32_e32 v76, v76
	v_dual_add_f32 v59, v59, v78 :: v_dual_fmac_f32 v82, 0x32a5705f, v49
	s_delay_alu instid0(VALU_DEP_3) | instskip(SKIP_2) | instid1(VALU_DEP_4)
	v_cndmask_b32_e64 v33, 0x7f800000, v19, s0
	v_cmp_ngt_f32_e64 s0, 0xc2ce8ed0, v21
	v_sub_f32_e32 v60, v60, v84
	v_exp_f32_e32 v59, v59
	v_cvt_i32_f32_e32 v80, v80
	v_add_f32_e32 v16, v16, v40
	v_cndmask_b32_e64 v18, 0, v70, s0
	v_cmp_nlt_f32_e64 s0, 0x42b17218, v30
	v_ldexp_f32 v58, v58, v76
	v_add_f32_e32 v60, v60, v82
	v_cvt_i32_f32_e32 v84, v84
	v_sub_f32_e32 v8, v8, v34
	v_cndmask_b32_e64 v32, 0x7f800000, v17, s0
	v_cmp_ngt_f32_e64 s0, 0xc2ce8ed0, v20
	v_exp_f32_e32 v60, v60
	v_ldexp_f32 v59, v59, v80
	v_add_f32_e32 v16, v16, v39
	v_exp_f32_e32 v61, v61
	v_cndmask_b32_e64 v17, 0, v71, s0
	v_cmp_nlt_f32_e64 s0, 0x42b17218, v21
	v_cvt_i32_f32_e32 v88, v88
	v_add_f32_e32 v16, v16, v38
	v_dual_fmac_f32 v90, 0x32a5705f, v51 :: v_dual_sub_f32 v7, v7, v34
	s_delay_alu instid0(VALU_DEP_4)
	v_cndmask_b32_e64 v31, 0x7f800000, v18, s0
	v_cmp_ngt_f32_e64 s0, 0xc2ce8ed0, v43
	v_ldexp_f32 v60, v60, v84
	v_add_f32_e32 v16, v16, v37
	v_fma_f32 v66, 0x3fb8aa3b, v52, -v63
	v_ldexp_f32 v19, v61, v88
	v_cndmask_b32_e64 v18, 0, v53, s0
	v_cmp_nlt_f32_e64 s0, 0x42b17218, v20
	v_add_f32_e32 v16, v16, v36
	v_fmac_f32_e32 v66, 0x32a5705f, v52
	v_sub_f32_e32 v12, v12, v34
	s_delay_alu instid0(VALU_DEP_4) | instskip(SKIP_2) | instid1(VALU_DEP_2)
	v_cndmask_b32_e64 v30, 0x7f800000, v17, s0
	v_cmp_ngt_f32_e64 s0, 0xc2ce8ed0, v44
	v_add_f32_e32 v16, v16, v33
	v_cndmask_b32_e64 v17, 0, v54, s0
	v_cmp_nlt_f32_e64 s0, 0x42b17218, v43
	s_delay_alu instid0(VALU_DEP_3) | instskip(NEXT) | instid1(VALU_DEP_2)
	v_dual_add_f32 v16, v16, v32 :: v_dual_mul_f32 v43, 0x3fb8aa3b, v10
	v_cndmask_b32_e64 v29, 0x7f800000, v18, s0
	v_cmp_ngt_f32_e64 s0, 0xc2ce8ed0, v25
	s_delay_alu instid0(VALU_DEP_3) | instskip(NEXT) | instid1(VALU_DEP_2)
	v_add_f32_e32 v16, v16, v31
	v_cndmask_b32_e64 v18, 0, v55, s0
	v_cmp_nlt_f32_e64 s0, 0x42b17218, v44
	s_delay_alu instid0(VALU_DEP_3) | instskip(SKIP_1) | instid1(VALU_DEP_3)
	v_add_f32_e32 v16, v16, v30
	v_fma_f32 v44, 0x3fb8aa3b, v10, -v43
	v_cndmask_b32_e64 v28, 0x7f800000, v17, s0
	v_cmp_ngt_f32_e64 s0, 0xc2ce8ed0, v22
	s_delay_alu instid0(VALU_DEP_4) | instskip(NEXT) | instid1(VALU_DEP_4)
	v_add_f32_e32 v16, v16, v29
	v_fmac_f32_e32 v44, 0x32a5705f, v10
	s_delay_alu instid0(VALU_DEP_3) | instskip(SKIP_1) | instid1(VALU_DEP_4)
	v_cndmask_b32_e64 v17, 0, v56, s0
	v_cmp_nlt_f32_e64 s0, 0x42b17218, v25
	v_add_f32_e32 v16, v16, v28
	s_delay_alu instid0(VALU_DEP_2) | instskip(SKIP_1) | instid1(VALU_DEP_2)
	v_cndmask_b32_e64 v27, 0x7f800000, v18, s0
	v_cmp_ngt_f32_e64 s0, 0xc2ce8ed0, v46
	v_add_f32_e32 v16, v16, v27
	s_delay_alu instid0(VALU_DEP_2) | instskip(SKIP_1) | instid1(VALU_DEP_1)
	v_cndmask_b32_e64 v18, 0, v57, s0
	v_cmp_nlt_f32_e64 s0, 0x42b17218, v22
	v_cndmask_b32_e64 v26, 0x7f800000, v17, s0
	v_cmp_ngt_f32_e64 s0, 0xc2ce8ed0, v47
	s_delay_alu instid0(VALU_DEP_2) | instskip(NEXT) | instid1(VALU_DEP_2)
	v_add_f32_e32 v16, v16, v26
	v_cndmask_b32_e64 v17, 0, v58, s0
	v_cmp_nlt_f32_e64 s0, 0x42b17218, v46
	v_rndne_f32_e32 v46, v43
	s_delay_alu instid0(VALU_DEP_2) | instskip(SKIP_1) | instid1(VALU_DEP_2)
	v_cndmask_b32_e64 v25, 0x7f800000, v18, s0
	v_cmp_ngt_f32_e64 s0, 0xc2ce8ed0, v48
	v_dual_sub_f32 v43, v43, v46 :: v_dual_add_f32 v16, v16, v25
	s_delay_alu instid0(VALU_DEP_2) | instskip(SKIP_2) | instid1(VALU_DEP_2)
	v_cndmask_b32_e64 v18, 0, v59, s0
	v_cmp_nlt_f32_e64 s0, 0x42b17218, v47
	v_mul_f32_e32 v47, 0x3fb8aa3b, v14
	v_cndmask_b32_e64 v24, 0x7f800000, v17, s0
	v_cmp_ngt_f32_e64 s0, 0xc2ce8ed0, v49
	s_delay_alu instid0(VALU_DEP_2) | instskip(NEXT) | instid1(VALU_DEP_2)
	v_add_f32_e32 v16, v16, v24
	v_cndmask_b32_e64 v17, 0, v60, s0
	v_cmp_nlt_f32_e64 s0, 0x42b17218, v48
	v_rndne_f32_e32 v48, v47
	s_delay_alu instid0(VALU_DEP_2) | instskip(SKIP_2) | instid1(VALU_DEP_3)
	v_cndmask_b32_e64 v23, 0x7f800000, v18, s0
	v_cmp_nlt_f32_e64 s0, 0x42b17218, v49
	v_dual_add_f32 v18, v62, v90 :: v_dual_mul_f32 v49, 0x3fb8aa3b, v11
	v_add_f32_e32 v16, v16, v23
	s_delay_alu instid0(VALU_DEP_3) | instskip(SKIP_3) | instid1(VALU_DEP_3)
	v_cndmask_b32_e64 v22, 0x7f800000, v17, s0
	v_rndne_f32_e32 v17, v63
	v_cmp_ngt_f32_e64 s0, 0xc2ce8ed0, v50
	v_exp_f32_e32 v18, v18
	v_add_f32_e32 v16, v16, v22
	s_delay_alu instid0(VALU_DEP_3) | instskip(NEXT) | instid1(VALU_DEP_3)
	v_sub_f32_e32 v20, v63, v17
	v_cndmask_b32_e64 v19, 0, v19, s0
	v_cmp_nlt_f32_e64 s0, 0x42b17218, v50
	v_cvt_i32_f32_e32 v17, v17
	v_mul_f32_e32 v50, 0x3fb8aa3b, v7
	v_add_f32_e32 v20, v20, v66
	s_delay_alu instid0(VALU_DEP_4) | instskip(SKIP_2) | instid1(VALU_DEP_3)
	v_cndmask_b32_e64 v21, 0x7f800000, v19, s0
	v_cvt_i32_f32_e32 v19, v92
	v_cmp_ngt_f32_e64 s0, 0xc2ce8ed0, v51
	v_add_f32_e32 v16, v16, v21
	s_delay_alu instid0(VALU_DEP_3) | instskip(SKIP_1) | instid1(VALU_DEP_1)
	v_ldexp_f32 v18, v18, v19
	v_exp_f32_e32 v19, v20
	v_cndmask_b32_e64 v18, 0, v18, s0
	v_cmp_nlt_f32_e64 s0, 0x42b17218, v51
	v_rndne_f32_e32 v51, v50
	s_delay_alu instid0(VALU_DEP_2)
	v_cndmask_b32_e64 v20, 0x7f800000, v18, s0
	s_waitcnt_depctr 0xfff
	v_ldexp_f32 v17, v19, v17
	v_add_f32_e32 v18, v43, v44
	v_cmp_ngt_f32_e64 s0, 0xc2ce8ed0, v52
	v_dual_mul_f32 v43, 0x3fb8aa3b, v15 :: v_dual_add_f32 v16, v16, v20
	s_delay_alu instid0(VALU_DEP_3) | instskip(NEXT) | instid1(VALU_DEP_2)
	v_exp_f32_e32 v18, v18
	v_cndmask_b32_e64 v17, 0, v17, s0
	v_cmp_nlt_f32_e64 s0, 0x42b17218, v52
	s_delay_alu instid0(VALU_DEP_3) | instskip(NEXT) | instid1(VALU_DEP_2)
	v_fma_f32 v44, 0x3fb8aa3b, v15, -v43
	v_cndmask_b32_e64 v19, 0x7f800000, v17, s0
	v_cvt_i32_f32_e32 v17, v46
	v_rndne_f32_e32 v46, v43
	s_delay_alu instid0(VALU_DEP_4)
	v_fmac_f32_e32 v44, 0x32a5705f, v15
	v_cmp_ngt_f32_e64 s0, 0xc2ce8ed0, v10
	v_add_f32_e32 v16, v16, v19
	v_ldexp_f32 v17, v18, v17
	v_sub_f32_e32 v18, v43, v46
	v_fma_f32 v43, 0x3fb8aa3b, v14, -v47
	v_sub_f32_e32 v47, v47, v48
	s_delay_alu instid0(VALU_DEP_4) | instskip(NEXT) | instid1(VALU_DEP_3)
	v_cndmask_b32_e64 v17, 0, v17, s0
	v_dual_add_f32 v44, v18, v44 :: v_dual_fmac_f32 v43, 0x32a5705f, v14
	v_cmp_nlt_f32_e64 s0, 0x42b17218, v10
	s_delay_alu instid0(VALU_DEP_2) | instskip(SKIP_1) | instid1(VALU_DEP_2)
	v_exp_f32_e32 v10, v44
	v_rndne_f32_e32 v44, v49
	v_cndmask_b32_e64 v18, 0x7f800000, v17, s0
	v_add_f32_e32 v17, v47, v43
	v_fma_f32 v43, 0x3fb8aa3b, v11, -v49
	v_sub_f32_e32 v47, v9, v34
	v_cvt_i32_f32_e32 v9, v46
	v_sub_f32_e32 v46, v49, v44
	v_exp_f32_e32 v17, v17
	v_fmac_f32_e32 v43, 0x32a5705f, v11
	v_mul_f32_e32 v49, 0x3fb8aa3b, v47
	v_ldexp_f32 v9, v10, v9
	v_cmp_ngt_f32_e64 s0, 0xc2ce8ed0, v15
	v_cvt_i32_f32_e32 v10, v48
	v_add_f32_e32 v43, v46, v43
	v_fma_f32 v46, 0x3fb8aa3b, v47, -v49
	v_rndne_f32_e32 v48, v49
	v_cndmask_b32_e64 v9, 0, v9, s0
	v_cmp_nlt_f32_e64 s0, 0x42b17218, v15
	v_ldexp_f32 v10, v17, v10
	v_exp_f32_e32 v43, v43
	v_dual_fmac_f32 v46, 0x32a5705f, v47 :: v_dual_sub_f32 v49, v49, v48
	s_delay_alu instid0(VALU_DEP_3) | instskip(SKIP_4) | instid1(VALU_DEP_4)
	v_cndmask_b32_e64 v17, 0x7f800000, v9, s0
	v_cmp_ngt_f32_e64 s0, 0xc2ce8ed0, v14
	v_add_f32_e32 v16, v16, v18
	v_cvt_i32_f32_e32 v9, v44
	v_add_f32_e32 v15, v49, v46
	v_cndmask_b32_e64 v10, 0, v10, s0
	v_cmp_nlt_f32_e64 s0, 0x42b17218, v14
	v_add_f32_e32 v44, v16, v17
	v_ldexp_f32 v9, v43, v9
	s_delay_alu instid0(VALU_DEP_3) | instskip(SKIP_3) | instid1(VALU_DEP_3)
	v_cndmask_b32_e64 v16, 0x7f800000, v10, s0
	v_exp_f32_e32 v10, v15
	v_cmp_ngt_f32_e64 s0, 0xc2ce8ed0, v11
	v_cvt_i32_f32_e32 v15, v48
	v_add_f32_e32 v14, v44, v16
	s_delay_alu instid0(VALU_DEP_3) | instskip(SKIP_2) | instid1(TRANS32_DEP_1)
	v_cndmask_b32_e64 v9, 0, v9, s0
	v_cmp_nlt_f32_e64 s0, 0x42b17218, v11
	v_mul_f32_e32 v11, 0x3fb8aa3b, v13
	v_ldexp_f32 v10, v10, v15
	s_delay_alu instid0(VALU_DEP_3) | instskip(SKIP_1) | instid1(VALU_DEP_4)
	v_cndmask_b32_e64 v9, 0x7f800000, v9, s0
	v_cmp_ngt_f32_e64 s0, 0xc2ce8ed0, v47
	v_fma_f32 v43, 0x3fb8aa3b, v13, -v11
	v_rndne_f32_e32 v44, v11
	s_delay_alu instid0(VALU_DEP_4) | instskip(NEXT) | instid1(VALU_DEP_4)
	v_add_f32_e32 v14, v14, v9
	v_cndmask_b32_e64 v10, 0, v10, s0
	v_cmp_nlt_f32_e64 s0, 0x42b17218, v47
	v_fmac_f32_e32 v43, 0x32a5705f, v13
	v_sub_f32_e32 v11, v11, v44
	v_mul_f32_e32 v47, 0x3fb8aa3b, v8
	v_cvt_i32_f32_e32 v44, v44
	v_cndmask_b32_e64 v15, 0x7f800000, v10, s0
	s_delay_alu instid0(VALU_DEP_4) | instskip(NEXT) | instid1(VALU_DEP_4)
	v_dual_mul_f32 v10, 0x3fb8aa3b, v12 :: v_dual_add_f32 v11, v11, v43
	v_fma_f32 v48, 0x3fb8aa3b, v8, -v47
	v_rndne_f32_e32 v49, v47
	s_delay_alu instid0(VALU_DEP_4) | instskip(NEXT) | instid1(VALU_DEP_4)
	v_add_f32_e32 v43, v14, v15
	v_fma_f32 v14, 0x3fb8aa3b, v12, -v10
	v_rndne_f32_e32 v46, v10
	v_exp_f32_e32 v11, v11
	v_fmac_f32_e32 v48, 0x32a5705f, v8
	v_cmp_ngt_f32_e64 s0, 0xc2ce8ed0, v13
	v_fmac_f32_e32 v14, 0x32a5705f, v12
	v_sub_f32_e32 v10, v10, v46
	v_cvt_i32_f32_e32 v46, v46
	s_delay_alu instid0(VALU_DEP_2) | instskip(SKIP_1) | instid1(TRANS32_DEP_1)
	v_add_f32_e32 v10, v10, v14
	v_sub_f32_e32 v14, v47, v49
	v_ldexp_f32 v11, v11, v44
	v_fma_f32 v47, 0x3fb8aa3b, v7, -v50
	v_sub_f32_e32 v44, v50, v51
	v_exp_f32_e32 v10, v10
	v_add_f32_e32 v14, v14, v48
	v_cndmask_b32_e64 v11, 0, v11, s0
	v_cmp_nlt_f32_e64 s0, 0x42b17218, v13
	v_fmac_f32_e32 v47, 0x32a5705f, v7
	s_delay_alu instid0(VALU_DEP_4) | instskip(NEXT) | instid1(VALU_DEP_2)
	v_exp_f32_e32 v48, v14
	v_cndmask_b32_e64 v14, 0x7f800000, v11, s0
	v_cmp_ngt_f32_e64 s0, 0xc2ce8ed0, v12
	s_delay_alu instid0(TRANS32_DEP_2)
	v_ldexp_f32 v10, v10, v46
	v_add_f32_e32 v44, v44, v47
	v_cvt_i32_f32_e32 v11, v49
	v_cvt_i32_f32_e32 v46, v51
	v_add_f32_e32 v43, v43, v14
	v_cndmask_b32_e64 v10, 0, v10, s0
	v_cmp_nlt_f32_e64 s0, 0x42b17218, v12
	v_exp_f32_e32 v44, v44
	v_ldexp_f32 v11, v48, v11
	s_delay_alu instid0(VALU_DEP_2) | instskip(SKIP_1) | instid1(VALU_DEP_2)
	v_cndmask_b32_e64 v13, 0x7f800000, v10, s0
	v_cmp_ngt_f32_e64 s0, 0xc2ce8ed0, v8
	v_add_f32_e32 v12, v43, v13
	s_delay_alu instid0(VALU_DEP_2) | instskip(SKIP_1) | instid1(TRANS32_DEP_1)
	v_cndmask_b32_e64 v10, 0, v11, s0
	v_cmp_nlt_f32_e64 s0, 0x42b17218, v8
	v_ldexp_f32 v11, v44, v46
	s_delay_alu instid0(VALU_DEP_2) | instskip(SKIP_1) | instid1(VALU_DEP_2)
	v_cndmask_b32_e64 v10, 0x7f800000, v10, s0
	v_cmp_ngt_f32_e64 s0, 0xc2ce8ed0, v7
	v_add_f32_e32 v12, v12, v10
	s_delay_alu instid0(VALU_DEP_2) | instskip(SKIP_1) | instid1(VALU_DEP_1)
	v_cndmask_b32_e64 v8, 0, v11, s0
	v_cmp_nlt_f32_e64 s0, 0x42b17218, v7
	v_cndmask_b32_e64 v11, 0x7f800000, v8, s0
	v_cmp_gt_i32_e64 s0, s6, v0
	s_delay_alu instid0(VALU_DEP_2) | instskip(NEXT) | instid1(VALU_DEP_2)
	v_add_f32_e32 v7, v12, v11
	s_and_b32 s0, vcc_lo, s0
	ds_bpermute_b32 v3, v3, v7
	s_waitcnt lgkmcnt(0)
	v_add_f32_e32 v3, v7, v3
	ds_bpermute_b32 v4, v4, v3
	s_waitcnt lgkmcnt(0)
	v_add_f32_e32 v3, v3, v4
	;; [unrolled: 3-line block ×4, first 2 shown]
	ds_bpermute_b32 v6, v35, v5
	s_and_saveexec_b32 s1, s0
	s_cbranch_execz .LBB21_253
; %bb.53:
	s_waitcnt lgkmcnt(0)
	v_dual_mov_b32 v3, 0 :: v_dual_add_f32 v12, v5, v6
	v_cmp_neq_f32_e64 s0, 0xc61c4000, v34
	v_mov_b32_e32 v4, 0
	s_delay_alu instid0(VALU_DEP_2)
	s_and_saveexec_b32 s1, s0
	s_cbranch_execz .LBB21_59
; %bb.54:
	v_div_scale_f32 v3, null, v12, v12, v45
	s_delay_alu instid0(VALU_DEP_1) | instskip(SKIP_2) | instid1(VALU_DEP_1)
	v_rcp_f32_e32 v4, v3
	s_waitcnt_depctr 0xfff
	v_fma_f32 v5, -v3, v4, 1.0
	v_fmac_f32_e32 v4, v5, v4
	v_div_scale_f32 v5, vcc_lo, v45, v12, v45
	s_delay_alu instid0(VALU_DEP_1) | instskip(NEXT) | instid1(VALU_DEP_1)
	v_mul_f32_e32 v6, v5, v4
	v_fma_f32 v7, -v3, v6, v5
	s_delay_alu instid0(VALU_DEP_1) | instskip(NEXT) | instid1(VALU_DEP_1)
	v_fmac_f32_e32 v6, v7, v4
	v_fma_f32 v3, -v3, v6, v5
	s_delay_alu instid0(VALU_DEP_1) | instskip(NEXT) | instid1(VALU_DEP_1)
	v_div_fmas_f32 v3, v3, v4, v6
	v_div_fixup_f32 v3, v3, v12, v45
	s_delay_alu instid0(VALU_DEP_1) | instskip(NEXT) | instid1(VALU_DEP_1)
	v_and_b32_e32 v4, 0x7f800000, v3
	v_cmp_ne_u32_e32 vcc_lo, 0x7f800000, v4
                                        ; implicit-def: $vgpr4
	s_and_saveexec_b32 s2, vcc_lo
	s_delay_alu instid0(SALU_CYCLE_1)
	s_xor_b32 s2, exec_lo, s2
; %bb.55:
	v_bfe_u32 v4, v3, 16, 1
	s_delay_alu instid0(VALU_DEP_1)
	v_add3_u32 v4, v3, v4, 0x7fff
                                        ; implicit-def: $vgpr3
; %bb.56:
	s_and_not1_saveexec_b32 s2, s2
; %bb.57:
	v_and_b32_e32 v4, 0xffff, v3
	v_or_b32_e32 v5, 0x10000, v3
	s_delay_alu instid0(VALU_DEP_2) | instskip(NEXT) | instid1(VALU_DEP_2)
	v_cmp_eq_u32_e32 vcc_lo, 0, v4
	v_cndmask_b32_e32 v4, v5, v3, vcc_lo
; %bb.58:
	s_or_b32 exec_lo, exec_lo, s2
	s_delay_alu instid0(VALU_DEP_1)
	v_lshrrev_b32_e32 v3, 16, v4
	v_mov_b32_e32 v4, 0
.LBB21_59:
	s_or_b32 exec_lo, exec_lo, s1
	v_mov_b32_e32 v5, 0
	v_mov_b32_e32 v6, 0
	s_and_saveexec_b32 s1, s0
	s_cbranch_execz .LBB21_65
; %bb.60:
	v_div_scale_f32 v5, null, v12, v12, v42
	s_delay_alu instid0(VALU_DEP_1) | instskip(SKIP_2) | instid1(VALU_DEP_1)
	v_rcp_f32_e32 v6, v5
	s_waitcnt_depctr 0xfff
	v_fma_f32 v7, -v5, v6, 1.0
	v_fmac_f32_e32 v6, v7, v6
	v_div_scale_f32 v7, vcc_lo, v42, v12, v42
	s_delay_alu instid0(VALU_DEP_1) | instskip(NEXT) | instid1(VALU_DEP_1)
	v_mul_f32_e32 v8, v7, v6
	v_fma_f32 v34, -v5, v8, v7
	s_delay_alu instid0(VALU_DEP_1) | instskip(NEXT) | instid1(VALU_DEP_1)
	v_fmac_f32_e32 v8, v34, v6
	v_fma_f32 v5, -v5, v8, v7
	s_delay_alu instid0(VALU_DEP_1) | instskip(NEXT) | instid1(VALU_DEP_1)
	v_div_fmas_f32 v5, v5, v6, v8
	v_div_fixup_f32 v5, v5, v12, v42
	s_delay_alu instid0(VALU_DEP_1) | instskip(NEXT) | instid1(VALU_DEP_1)
	v_and_b32_e32 v6, 0x7f800000, v5
	v_cmp_ne_u32_e32 vcc_lo, 0x7f800000, v6
                                        ; implicit-def: $vgpr6
	s_and_saveexec_b32 s2, vcc_lo
	s_delay_alu instid0(SALU_CYCLE_1)
	s_xor_b32 s2, exec_lo, s2
; %bb.61:
	v_bfe_u32 v6, v5, 16, 1
	s_delay_alu instid0(VALU_DEP_1)
	v_add3_u32 v6, v5, v6, 0x7fff
                                        ; implicit-def: $vgpr5
; %bb.62:
	s_and_not1_saveexec_b32 s2, s2
; %bb.63:
	v_and_b32_e32 v6, 0xffff, v5
	v_or_b32_e32 v7, 0x10000, v5
	s_delay_alu instid0(VALU_DEP_2) | instskip(NEXT) | instid1(VALU_DEP_2)
	v_cmp_eq_u32_e32 vcc_lo, 0, v6
	v_cndmask_b32_e32 v6, v7, v5, vcc_lo
; %bb.64:
	s_or_b32 exec_lo, exec_lo, s2
	s_delay_alu instid0(VALU_DEP_1)
	v_lshrrev_b32_e32 v5, 16, v6
.LBB21_65:
	s_or_b32 exec_lo, exec_lo, s1
	v_mov_b32_e32 v6, 0
	v_mov_b32_e32 v7, 0
	s_and_saveexec_b32 s1, s0
	s_cbranch_execz .LBB21_71
; %bb.66:
	v_div_scale_f32 v6, null, v12, v12, v41
	s_delay_alu instid0(VALU_DEP_1) | instskip(SKIP_2) | instid1(VALU_DEP_1)
	v_rcp_f32_e32 v7, v6
	s_waitcnt_depctr 0xfff
	v_fma_f32 v8, -v6, v7, 1.0
	v_fmac_f32_e32 v7, v8, v7
	v_div_scale_f32 v8, vcc_lo, v41, v12, v41
	s_delay_alu instid0(VALU_DEP_1) | instskip(NEXT) | instid1(VALU_DEP_1)
	v_mul_f32_e32 v34, v8, v7
	v_fma_f32 v35, -v6, v34, v8
	s_delay_alu instid0(VALU_DEP_1) | instskip(NEXT) | instid1(VALU_DEP_1)
	v_fmac_f32_e32 v34, v35, v7
	v_fma_f32 v6, -v6, v34, v8
	s_delay_alu instid0(VALU_DEP_1) | instskip(NEXT) | instid1(VALU_DEP_1)
	v_div_fmas_f32 v6, v6, v7, v34
	v_div_fixup_f32 v6, v6, v12, v41
	s_delay_alu instid0(VALU_DEP_1) | instskip(NEXT) | instid1(VALU_DEP_1)
	v_and_b32_e32 v7, 0x7f800000, v6
	v_cmp_ne_u32_e32 vcc_lo, 0x7f800000, v7
                                        ; implicit-def: $vgpr7
	s_and_saveexec_b32 s2, vcc_lo
	s_delay_alu instid0(SALU_CYCLE_1)
	s_xor_b32 s2, exec_lo, s2
; %bb.67:
	v_bfe_u32 v7, v6, 16, 1
	s_delay_alu instid0(VALU_DEP_1)
	v_add3_u32 v7, v6, v7, 0x7fff
                                        ; implicit-def: $vgpr6
; %bb.68:
	s_and_not1_saveexec_b32 s2, s2
; %bb.69:
	v_and_b32_e32 v7, 0xffff, v6
	v_or_b32_e32 v8, 0x10000, v6
	s_delay_alu instid0(VALU_DEP_2) | instskip(NEXT) | instid1(VALU_DEP_2)
	v_cmp_eq_u32_e32 vcc_lo, 0, v7
	v_cndmask_b32_e32 v7, v8, v6, vcc_lo
; %bb.70:
	s_or_b32 exec_lo, exec_lo, s2
	s_delay_alu instid0(VALU_DEP_1)
	v_lshrrev_b32_e32 v6, 16, v7
.LBB21_71:
	s_or_b32 exec_lo, exec_lo, s1
	v_mov_b32_e32 v7, 0
	v_mov_b32_e32 v8, 0
	s_and_saveexec_b32 s1, s0
	s_cbranch_execz .LBB21_77
; %bb.72:
	v_div_scale_f32 v7, null, v12, v12, v40
	s_delay_alu instid0(VALU_DEP_1) | instskip(SKIP_2) | instid1(VALU_DEP_1)
	v_rcp_f32_e32 v8, v7
	s_waitcnt_depctr 0xfff
	v_fma_f32 v34, -v7, v8, 1.0
	v_fmac_f32_e32 v8, v34, v8
	v_div_scale_f32 v34, vcc_lo, v40, v12, v40
	s_delay_alu instid0(VALU_DEP_1) | instskip(NEXT) | instid1(VALU_DEP_1)
	v_mul_f32_e32 v35, v34, v8
	v_fma_f32 v41, -v7, v35, v34
	s_delay_alu instid0(VALU_DEP_1) | instskip(NEXT) | instid1(VALU_DEP_1)
	v_fmac_f32_e32 v35, v41, v8
	v_fma_f32 v7, -v7, v35, v34
	s_delay_alu instid0(VALU_DEP_1) | instskip(NEXT) | instid1(VALU_DEP_1)
	v_div_fmas_f32 v7, v7, v8, v35
	v_div_fixup_f32 v7, v7, v12, v40
	s_delay_alu instid0(VALU_DEP_1) | instskip(NEXT) | instid1(VALU_DEP_1)
	v_and_b32_e32 v8, 0x7f800000, v7
	v_cmp_ne_u32_e32 vcc_lo, 0x7f800000, v8
                                        ; implicit-def: $vgpr8
	s_and_saveexec_b32 s2, vcc_lo
	s_delay_alu instid0(SALU_CYCLE_1)
	s_xor_b32 s2, exec_lo, s2
; %bb.73:
	v_bfe_u32 v8, v7, 16, 1
	s_delay_alu instid0(VALU_DEP_1)
	v_add3_u32 v8, v7, v8, 0x7fff
                                        ; implicit-def: $vgpr7
; %bb.74:
	s_and_not1_saveexec_b32 s2, s2
; %bb.75:
	v_and_b32_e32 v8, 0xffff, v7
	v_or_b32_e32 v34, 0x10000, v7
	s_delay_alu instid0(VALU_DEP_2) | instskip(NEXT) | instid1(VALU_DEP_2)
	v_cmp_eq_u32_e32 vcc_lo, 0, v8
	v_cndmask_b32_e32 v8, v34, v7, vcc_lo
; %bb.76:
	s_or_b32 exec_lo, exec_lo, s2
	s_delay_alu instid0(VALU_DEP_1)
	v_lshrrev_b32_e32 v7, 16, v8
.LBB21_77:
	s_or_b32 exec_lo, exec_lo, s1
	s_delay_alu instid0(VALU_DEP_1) | instskip(SKIP_3) | instid1(VALU_DEP_4)
	v_lshlrev_b32_e32 v7, 16, v7
	v_lshlrev_b32_e32 v5, 16, v5
	v_add_nc_u32_e32 v8, 0x80, v0
	v_add_co_u32 v1, vcc_lo, s8, v1
	v_or_b32_e32 v6, v7, v6
	v_add_co_ci_u32_e32 v2, vcc_lo, s9, v2, vcc_lo
	v_or_b32_e32 v3, v5, v3
	v_cmp_gt_u32_e32 vcc_lo, s6, v8
	s_delay_alu instid0(VALU_DEP_4)
	v_or_b32_e32 v4, v6, v4
	global_store_b64 v[1:2], v[3:4], off
	s_and_b32 exec_lo, exec_lo, vcc_lo
	s_cbranch_execz .LBB21_253
; %bb.78:
	v_mov_b32_e32 v3, 0
	v_mov_b32_e32 v4, 0
	s_and_saveexec_b32 s1, s0
	s_cbranch_execz .LBB21_84
; %bb.79:
	v_div_scale_f32 v3, null, v12, v12, v39
	s_delay_alu instid0(VALU_DEP_1) | instskip(SKIP_2) | instid1(VALU_DEP_1)
	v_rcp_f32_e32 v4, v3
	s_waitcnt_depctr 0xfff
	v_fma_f32 v5, -v3, v4, 1.0
	v_fmac_f32_e32 v4, v5, v4
	v_div_scale_f32 v5, vcc_lo, v39, v12, v39
	s_delay_alu instid0(VALU_DEP_1) | instskip(NEXT) | instid1(VALU_DEP_1)
	v_mul_f32_e32 v6, v5, v4
	v_fma_f32 v7, -v3, v6, v5
	s_delay_alu instid0(VALU_DEP_1) | instskip(NEXT) | instid1(VALU_DEP_1)
	v_fmac_f32_e32 v6, v7, v4
	v_fma_f32 v3, -v3, v6, v5
	s_delay_alu instid0(VALU_DEP_1) | instskip(NEXT) | instid1(VALU_DEP_1)
	v_div_fmas_f32 v3, v3, v4, v6
	v_div_fixup_f32 v3, v3, v12, v39
	s_delay_alu instid0(VALU_DEP_1) | instskip(NEXT) | instid1(VALU_DEP_1)
	v_and_b32_e32 v4, 0x7f800000, v3
	v_cmp_ne_u32_e32 vcc_lo, 0x7f800000, v4
                                        ; implicit-def: $vgpr4
	s_and_saveexec_b32 s2, vcc_lo
	s_delay_alu instid0(SALU_CYCLE_1)
	s_xor_b32 s2, exec_lo, s2
; %bb.80:
	v_bfe_u32 v4, v3, 16, 1
	s_delay_alu instid0(VALU_DEP_1)
	v_add3_u32 v4, v3, v4, 0x7fff
                                        ; implicit-def: $vgpr3
; %bb.81:
	s_and_not1_saveexec_b32 s2, s2
; %bb.82:
	v_and_b32_e32 v4, 0xffff, v3
	v_or_b32_e32 v5, 0x10000, v3
	s_delay_alu instid0(VALU_DEP_2) | instskip(NEXT) | instid1(VALU_DEP_2)
	v_cmp_eq_u32_e32 vcc_lo, 0, v4
	v_cndmask_b32_e32 v4, v5, v3, vcc_lo
; %bb.83:
	s_or_b32 exec_lo, exec_lo, s2
	s_delay_alu instid0(VALU_DEP_1)
	v_lshrrev_b32_e32 v3, 16, v4
	v_mov_b32_e32 v4, 0
.LBB21_84:
	s_or_b32 exec_lo, exec_lo, s1
	v_mov_b32_e32 v5, 0
	v_mov_b32_e32 v6, 0
	s_and_saveexec_b32 s1, s0
	s_cbranch_execz .LBB21_90
; %bb.85:
	v_div_scale_f32 v5, null, v12, v12, v38
	s_delay_alu instid0(VALU_DEP_1) | instskip(SKIP_2) | instid1(VALU_DEP_1)
	v_rcp_f32_e32 v6, v5
	s_waitcnt_depctr 0xfff
	v_fma_f32 v7, -v5, v6, 1.0
	v_fmac_f32_e32 v6, v7, v6
	v_div_scale_f32 v7, vcc_lo, v38, v12, v38
	s_delay_alu instid0(VALU_DEP_1) | instskip(NEXT) | instid1(VALU_DEP_1)
	v_mul_f32_e32 v8, v7, v6
	v_fma_f32 v34, -v5, v8, v7
	s_delay_alu instid0(VALU_DEP_1) | instskip(NEXT) | instid1(VALU_DEP_1)
	v_fmac_f32_e32 v8, v34, v6
	v_fma_f32 v5, -v5, v8, v7
	s_delay_alu instid0(VALU_DEP_1) | instskip(NEXT) | instid1(VALU_DEP_1)
	v_div_fmas_f32 v5, v5, v6, v8
	v_div_fixup_f32 v5, v5, v12, v38
	s_delay_alu instid0(VALU_DEP_1) | instskip(NEXT) | instid1(VALU_DEP_1)
	v_and_b32_e32 v6, 0x7f800000, v5
	v_cmp_ne_u32_e32 vcc_lo, 0x7f800000, v6
                                        ; implicit-def: $vgpr6
	s_and_saveexec_b32 s2, vcc_lo
	s_delay_alu instid0(SALU_CYCLE_1)
	s_xor_b32 s2, exec_lo, s2
; %bb.86:
	v_bfe_u32 v6, v5, 16, 1
	s_delay_alu instid0(VALU_DEP_1)
	v_add3_u32 v6, v5, v6, 0x7fff
                                        ; implicit-def: $vgpr5
; %bb.87:
	s_and_not1_saveexec_b32 s2, s2
; %bb.88:
	v_and_b32_e32 v6, 0xffff, v5
	v_or_b32_e32 v7, 0x10000, v5
	s_delay_alu instid0(VALU_DEP_2) | instskip(NEXT) | instid1(VALU_DEP_2)
	v_cmp_eq_u32_e32 vcc_lo, 0, v6
	v_cndmask_b32_e32 v6, v7, v5, vcc_lo
; %bb.89:
	s_or_b32 exec_lo, exec_lo, s2
	s_delay_alu instid0(VALU_DEP_1)
	v_lshrrev_b32_e32 v5, 16, v6
.LBB21_90:
	s_or_b32 exec_lo, exec_lo, s1
	v_mov_b32_e32 v6, 0
	v_mov_b32_e32 v7, 0
	s_and_saveexec_b32 s1, s0
	s_cbranch_execz .LBB21_96
; %bb.91:
	v_div_scale_f32 v6, null, v12, v12, v37
	s_delay_alu instid0(VALU_DEP_1) | instskip(SKIP_2) | instid1(VALU_DEP_1)
	v_rcp_f32_e32 v7, v6
	s_waitcnt_depctr 0xfff
	v_fma_f32 v8, -v6, v7, 1.0
	v_fmac_f32_e32 v7, v8, v7
	v_div_scale_f32 v8, vcc_lo, v37, v12, v37
	s_delay_alu instid0(VALU_DEP_1) | instskip(NEXT) | instid1(VALU_DEP_1)
	v_mul_f32_e32 v34, v8, v7
	v_fma_f32 v35, -v6, v34, v8
	s_delay_alu instid0(VALU_DEP_1) | instskip(NEXT) | instid1(VALU_DEP_1)
	v_fmac_f32_e32 v34, v35, v7
	v_fma_f32 v6, -v6, v34, v8
	s_delay_alu instid0(VALU_DEP_1) | instskip(NEXT) | instid1(VALU_DEP_1)
	v_div_fmas_f32 v6, v6, v7, v34
	v_div_fixup_f32 v6, v6, v12, v37
	s_delay_alu instid0(VALU_DEP_1) | instskip(NEXT) | instid1(VALU_DEP_1)
	v_and_b32_e32 v7, 0x7f800000, v6
	v_cmp_ne_u32_e32 vcc_lo, 0x7f800000, v7
                                        ; implicit-def: $vgpr7
	s_and_saveexec_b32 s2, vcc_lo
	s_delay_alu instid0(SALU_CYCLE_1)
	s_xor_b32 s2, exec_lo, s2
; %bb.92:
	v_bfe_u32 v7, v6, 16, 1
	s_delay_alu instid0(VALU_DEP_1)
	v_add3_u32 v7, v6, v7, 0x7fff
                                        ; implicit-def: $vgpr6
; %bb.93:
	s_and_not1_saveexec_b32 s2, s2
; %bb.94:
	v_and_b32_e32 v7, 0xffff, v6
	v_or_b32_e32 v8, 0x10000, v6
	s_delay_alu instid0(VALU_DEP_2) | instskip(NEXT) | instid1(VALU_DEP_2)
	v_cmp_eq_u32_e32 vcc_lo, 0, v7
	v_cndmask_b32_e32 v7, v8, v6, vcc_lo
; %bb.95:
	s_or_b32 exec_lo, exec_lo, s2
	s_delay_alu instid0(VALU_DEP_1)
	v_lshrrev_b32_e32 v6, 16, v7
.LBB21_96:
	s_or_b32 exec_lo, exec_lo, s1
	v_mov_b32_e32 v7, 0
	v_mov_b32_e32 v8, 0
	s_and_saveexec_b32 s1, s0
	s_cbranch_execz .LBB21_102
; %bb.97:
	v_div_scale_f32 v7, null, v12, v12, v36
	s_delay_alu instid0(VALU_DEP_1) | instskip(SKIP_2) | instid1(VALU_DEP_1)
	v_rcp_f32_e32 v8, v7
	s_waitcnt_depctr 0xfff
	v_fma_f32 v34, -v7, v8, 1.0
	v_fmac_f32_e32 v8, v34, v8
	v_div_scale_f32 v34, vcc_lo, v36, v12, v36
	s_delay_alu instid0(VALU_DEP_1) | instskip(NEXT) | instid1(VALU_DEP_1)
	v_mul_f32_e32 v35, v34, v8
	v_fma_f32 v37, -v7, v35, v34
	s_delay_alu instid0(VALU_DEP_1) | instskip(NEXT) | instid1(VALU_DEP_1)
	v_fmac_f32_e32 v35, v37, v8
	v_fma_f32 v7, -v7, v35, v34
	s_delay_alu instid0(VALU_DEP_1) | instskip(NEXT) | instid1(VALU_DEP_1)
	v_div_fmas_f32 v7, v7, v8, v35
	v_div_fixup_f32 v7, v7, v12, v36
	s_delay_alu instid0(VALU_DEP_1) | instskip(NEXT) | instid1(VALU_DEP_1)
	v_and_b32_e32 v8, 0x7f800000, v7
	v_cmp_ne_u32_e32 vcc_lo, 0x7f800000, v8
                                        ; implicit-def: $vgpr8
	s_and_saveexec_b32 s2, vcc_lo
	s_delay_alu instid0(SALU_CYCLE_1)
	s_xor_b32 s2, exec_lo, s2
; %bb.98:
	v_bfe_u32 v8, v7, 16, 1
	s_delay_alu instid0(VALU_DEP_1)
	v_add3_u32 v8, v7, v8, 0x7fff
                                        ; implicit-def: $vgpr7
; %bb.99:
	s_and_not1_saveexec_b32 s2, s2
; %bb.100:
	v_and_b32_e32 v8, 0xffff, v7
	v_or_b32_e32 v34, 0x10000, v7
	s_delay_alu instid0(VALU_DEP_2) | instskip(NEXT) | instid1(VALU_DEP_2)
	v_cmp_eq_u32_e32 vcc_lo, 0, v8
	v_cndmask_b32_e32 v8, v34, v7, vcc_lo
; %bb.101:
	s_or_b32 exec_lo, exec_lo, s2
	s_delay_alu instid0(VALU_DEP_1)
	v_lshrrev_b32_e32 v7, 16, v8
.LBB21_102:
	s_or_b32 exec_lo, exec_lo, s1
	s_delay_alu instid0(VALU_DEP_1) | instskip(SKIP_1) | instid1(VALU_DEP_2)
	v_lshlrev_b32_e32 v7, 16, v7
	v_lshlrev_b32_e32 v5, 16, v5
	v_or_b32_e32 v6, v7, v6
	v_add_nc_u32_e32 v7, 0x100, v0
	s_delay_alu instid0(VALU_DEP_3) | instskip(NEXT) | instid1(VALU_DEP_3)
	v_or_b32_e32 v3, v5, v3
	v_or_b32_e32 v4, v6, v4
	s_delay_alu instid0(VALU_DEP_3)
	v_cmp_gt_u32_e32 vcc_lo, s6, v7
	global_store_b64 v[1:2], v[3:4], off offset:256
	s_and_b32 exec_lo, exec_lo, vcc_lo
	s_cbranch_execz .LBB21_253
; %bb.103:
	v_mov_b32_e32 v3, 0
	v_mov_b32_e32 v4, 0
	s_and_saveexec_b32 s1, s0
	s_cbranch_execz .LBB21_109
; %bb.104:
	v_div_scale_f32 v3, null, v12, v12, v33
	s_delay_alu instid0(VALU_DEP_1) | instskip(SKIP_2) | instid1(VALU_DEP_1)
	v_rcp_f32_e32 v4, v3
	s_waitcnt_depctr 0xfff
	v_fma_f32 v5, -v3, v4, 1.0
	v_fmac_f32_e32 v4, v5, v4
	v_div_scale_f32 v5, vcc_lo, v33, v12, v33
	s_delay_alu instid0(VALU_DEP_1) | instskip(NEXT) | instid1(VALU_DEP_1)
	v_mul_f32_e32 v6, v5, v4
	v_fma_f32 v7, -v3, v6, v5
	s_delay_alu instid0(VALU_DEP_1) | instskip(NEXT) | instid1(VALU_DEP_1)
	v_fmac_f32_e32 v6, v7, v4
	v_fma_f32 v3, -v3, v6, v5
	s_delay_alu instid0(VALU_DEP_1) | instskip(NEXT) | instid1(VALU_DEP_1)
	v_div_fmas_f32 v3, v3, v4, v6
	v_div_fixup_f32 v3, v3, v12, v33
	s_delay_alu instid0(VALU_DEP_1) | instskip(NEXT) | instid1(VALU_DEP_1)
	v_and_b32_e32 v4, 0x7f800000, v3
	v_cmp_ne_u32_e32 vcc_lo, 0x7f800000, v4
                                        ; implicit-def: $vgpr4
	s_and_saveexec_b32 s2, vcc_lo
	s_delay_alu instid0(SALU_CYCLE_1)
	s_xor_b32 s2, exec_lo, s2
; %bb.105:
	v_bfe_u32 v4, v3, 16, 1
	s_delay_alu instid0(VALU_DEP_1)
	v_add3_u32 v4, v3, v4, 0x7fff
                                        ; implicit-def: $vgpr3
; %bb.106:
	s_and_not1_saveexec_b32 s2, s2
; %bb.107:
	v_and_b32_e32 v4, 0xffff, v3
	v_or_b32_e32 v5, 0x10000, v3
	s_delay_alu instid0(VALU_DEP_2) | instskip(NEXT) | instid1(VALU_DEP_2)
	v_cmp_eq_u32_e32 vcc_lo, 0, v4
	v_cndmask_b32_e32 v4, v5, v3, vcc_lo
; %bb.108:
	s_or_b32 exec_lo, exec_lo, s2
	s_delay_alu instid0(VALU_DEP_1)
	v_lshrrev_b32_e32 v3, 16, v4
	v_mov_b32_e32 v4, 0
.LBB21_109:
	s_or_b32 exec_lo, exec_lo, s1
	v_mov_b32_e32 v5, 0
	v_mov_b32_e32 v6, 0
	s_and_saveexec_b32 s1, s0
	s_cbranch_execz .LBB21_115
; %bb.110:
	v_div_scale_f32 v5, null, v12, v12, v32
	s_delay_alu instid0(VALU_DEP_1) | instskip(SKIP_2) | instid1(VALU_DEP_1)
	v_rcp_f32_e32 v6, v5
	s_waitcnt_depctr 0xfff
	v_fma_f32 v7, -v5, v6, 1.0
	v_fmac_f32_e32 v6, v7, v6
	v_div_scale_f32 v7, vcc_lo, v32, v12, v32
	s_delay_alu instid0(VALU_DEP_1) | instskip(NEXT) | instid1(VALU_DEP_1)
	v_mul_f32_e32 v8, v7, v6
	v_fma_f32 v33, -v5, v8, v7
	s_delay_alu instid0(VALU_DEP_1) | instskip(NEXT) | instid1(VALU_DEP_1)
	v_fmac_f32_e32 v8, v33, v6
	v_fma_f32 v5, -v5, v8, v7
	s_delay_alu instid0(VALU_DEP_1) | instskip(NEXT) | instid1(VALU_DEP_1)
	v_div_fmas_f32 v5, v5, v6, v8
	v_div_fixup_f32 v5, v5, v12, v32
	s_delay_alu instid0(VALU_DEP_1) | instskip(NEXT) | instid1(VALU_DEP_1)
	v_and_b32_e32 v6, 0x7f800000, v5
	v_cmp_ne_u32_e32 vcc_lo, 0x7f800000, v6
                                        ; implicit-def: $vgpr6
	s_and_saveexec_b32 s2, vcc_lo
	s_delay_alu instid0(SALU_CYCLE_1)
	s_xor_b32 s2, exec_lo, s2
; %bb.111:
	v_bfe_u32 v6, v5, 16, 1
	s_delay_alu instid0(VALU_DEP_1)
	v_add3_u32 v6, v5, v6, 0x7fff
                                        ; implicit-def: $vgpr5
; %bb.112:
	s_and_not1_saveexec_b32 s2, s2
; %bb.113:
	v_and_b32_e32 v6, 0xffff, v5
	v_or_b32_e32 v7, 0x10000, v5
	s_delay_alu instid0(VALU_DEP_2) | instskip(NEXT) | instid1(VALU_DEP_2)
	v_cmp_eq_u32_e32 vcc_lo, 0, v6
	v_cndmask_b32_e32 v6, v7, v5, vcc_lo
; %bb.114:
	s_or_b32 exec_lo, exec_lo, s2
	s_delay_alu instid0(VALU_DEP_1)
	v_lshrrev_b32_e32 v5, 16, v6
.LBB21_115:
	s_or_b32 exec_lo, exec_lo, s1
	v_mov_b32_e32 v6, 0
	v_mov_b32_e32 v7, 0
	s_and_saveexec_b32 s1, s0
	s_cbranch_execz .LBB21_121
; %bb.116:
	v_div_scale_f32 v6, null, v12, v12, v31
	s_delay_alu instid0(VALU_DEP_1) | instskip(SKIP_2) | instid1(VALU_DEP_1)
	v_rcp_f32_e32 v7, v6
	s_waitcnt_depctr 0xfff
	v_fma_f32 v8, -v6, v7, 1.0
	v_fmac_f32_e32 v7, v8, v7
	v_div_scale_f32 v8, vcc_lo, v31, v12, v31
	s_delay_alu instid0(VALU_DEP_1) | instskip(NEXT) | instid1(VALU_DEP_1)
	v_mul_f32_e32 v32, v8, v7
	v_fma_f32 v33, -v6, v32, v8
	s_delay_alu instid0(VALU_DEP_1) | instskip(NEXT) | instid1(VALU_DEP_1)
	v_fmac_f32_e32 v32, v33, v7
	v_fma_f32 v6, -v6, v32, v8
	s_delay_alu instid0(VALU_DEP_1) | instskip(NEXT) | instid1(VALU_DEP_1)
	v_div_fmas_f32 v6, v6, v7, v32
	v_div_fixup_f32 v6, v6, v12, v31
	s_delay_alu instid0(VALU_DEP_1) | instskip(NEXT) | instid1(VALU_DEP_1)
	v_and_b32_e32 v7, 0x7f800000, v6
	v_cmp_ne_u32_e32 vcc_lo, 0x7f800000, v7
                                        ; implicit-def: $vgpr7
	s_and_saveexec_b32 s2, vcc_lo
	s_delay_alu instid0(SALU_CYCLE_1)
	s_xor_b32 s2, exec_lo, s2
; %bb.117:
	v_bfe_u32 v7, v6, 16, 1
	s_delay_alu instid0(VALU_DEP_1)
	v_add3_u32 v7, v6, v7, 0x7fff
                                        ; implicit-def: $vgpr6
; %bb.118:
	s_and_not1_saveexec_b32 s2, s2
; %bb.119:
	v_and_b32_e32 v7, 0xffff, v6
	v_or_b32_e32 v8, 0x10000, v6
	s_delay_alu instid0(VALU_DEP_2) | instskip(NEXT) | instid1(VALU_DEP_2)
	v_cmp_eq_u32_e32 vcc_lo, 0, v7
	v_cndmask_b32_e32 v7, v8, v6, vcc_lo
; %bb.120:
	s_or_b32 exec_lo, exec_lo, s2
	s_delay_alu instid0(VALU_DEP_1)
	v_lshrrev_b32_e32 v6, 16, v7
.LBB21_121:
	s_or_b32 exec_lo, exec_lo, s1
	v_mov_b32_e32 v7, 0
	v_mov_b32_e32 v8, 0
	s_and_saveexec_b32 s1, s0
	s_cbranch_execz .LBB21_127
; %bb.122:
	v_div_scale_f32 v7, null, v12, v12, v30
	s_delay_alu instid0(VALU_DEP_1) | instskip(SKIP_2) | instid1(VALU_DEP_1)
	v_rcp_f32_e32 v8, v7
	s_waitcnt_depctr 0xfff
	v_fma_f32 v31, -v7, v8, 1.0
	v_fmac_f32_e32 v8, v31, v8
	v_div_scale_f32 v31, vcc_lo, v30, v12, v30
	s_delay_alu instid0(VALU_DEP_1) | instskip(NEXT) | instid1(VALU_DEP_1)
	v_mul_f32_e32 v32, v31, v8
	v_fma_f32 v33, -v7, v32, v31
	s_delay_alu instid0(VALU_DEP_1) | instskip(NEXT) | instid1(VALU_DEP_1)
	v_fmac_f32_e32 v32, v33, v8
	v_fma_f32 v7, -v7, v32, v31
	s_delay_alu instid0(VALU_DEP_1) | instskip(NEXT) | instid1(VALU_DEP_1)
	v_div_fmas_f32 v7, v7, v8, v32
	v_div_fixup_f32 v7, v7, v12, v30
	s_delay_alu instid0(VALU_DEP_1) | instskip(NEXT) | instid1(VALU_DEP_1)
	v_and_b32_e32 v8, 0x7f800000, v7
	v_cmp_ne_u32_e32 vcc_lo, 0x7f800000, v8
                                        ; implicit-def: $vgpr8
	s_and_saveexec_b32 s2, vcc_lo
	s_delay_alu instid0(SALU_CYCLE_1)
	s_xor_b32 s2, exec_lo, s2
; %bb.123:
	v_bfe_u32 v8, v7, 16, 1
	s_delay_alu instid0(VALU_DEP_1)
	v_add3_u32 v8, v7, v8, 0x7fff
                                        ; implicit-def: $vgpr7
; %bb.124:
	s_and_not1_saveexec_b32 s2, s2
; %bb.125:
	v_and_b32_e32 v8, 0xffff, v7
	v_or_b32_e32 v30, 0x10000, v7
	s_delay_alu instid0(VALU_DEP_2) | instskip(NEXT) | instid1(VALU_DEP_2)
	v_cmp_eq_u32_e32 vcc_lo, 0, v8
	v_cndmask_b32_e32 v8, v30, v7, vcc_lo
; %bb.126:
	s_or_b32 exec_lo, exec_lo, s2
	s_delay_alu instid0(VALU_DEP_1)
	v_lshrrev_b32_e32 v7, 16, v8
.LBB21_127:
	s_or_b32 exec_lo, exec_lo, s1
	s_delay_alu instid0(VALU_DEP_1) | instskip(SKIP_1) | instid1(VALU_DEP_2)
	v_lshlrev_b32_e32 v7, 16, v7
	v_lshlrev_b32_e32 v5, 16, v5
	v_or_b32_e32 v6, v7, v6
	v_add_nc_u32_e32 v7, 0x180, v0
	s_delay_alu instid0(VALU_DEP_3) | instskip(NEXT) | instid1(VALU_DEP_3)
	v_or_b32_e32 v3, v5, v3
	v_or_b32_e32 v4, v6, v4
	s_delay_alu instid0(VALU_DEP_3)
	v_cmp_gt_u32_e32 vcc_lo, s6, v7
	global_store_b64 v[1:2], v[3:4], off offset:512
	s_and_b32 exec_lo, exec_lo, vcc_lo
	s_cbranch_execz .LBB21_253
; %bb.128:
	v_mov_b32_e32 v3, 0
	v_mov_b32_e32 v4, 0
	s_and_saveexec_b32 s1, s0
	s_cbranch_execz .LBB21_134
; %bb.129:
	v_div_scale_f32 v3, null, v12, v12, v29
	s_delay_alu instid0(VALU_DEP_1) | instskip(SKIP_2) | instid1(VALU_DEP_1)
	v_rcp_f32_e32 v4, v3
	s_waitcnt_depctr 0xfff
	v_fma_f32 v5, -v3, v4, 1.0
	v_fmac_f32_e32 v4, v5, v4
	v_div_scale_f32 v5, vcc_lo, v29, v12, v29
	s_delay_alu instid0(VALU_DEP_1) | instskip(NEXT) | instid1(VALU_DEP_1)
	v_mul_f32_e32 v6, v5, v4
	v_fma_f32 v7, -v3, v6, v5
	s_delay_alu instid0(VALU_DEP_1) | instskip(NEXT) | instid1(VALU_DEP_1)
	v_fmac_f32_e32 v6, v7, v4
	v_fma_f32 v3, -v3, v6, v5
	s_delay_alu instid0(VALU_DEP_1) | instskip(NEXT) | instid1(VALU_DEP_1)
	v_div_fmas_f32 v3, v3, v4, v6
	v_div_fixup_f32 v3, v3, v12, v29
	s_delay_alu instid0(VALU_DEP_1) | instskip(NEXT) | instid1(VALU_DEP_1)
	v_and_b32_e32 v4, 0x7f800000, v3
	v_cmp_ne_u32_e32 vcc_lo, 0x7f800000, v4
                                        ; implicit-def: $vgpr4
	s_and_saveexec_b32 s2, vcc_lo
	s_delay_alu instid0(SALU_CYCLE_1)
	s_xor_b32 s2, exec_lo, s2
; %bb.130:
	v_bfe_u32 v4, v3, 16, 1
	s_delay_alu instid0(VALU_DEP_1)
	v_add3_u32 v4, v3, v4, 0x7fff
                                        ; implicit-def: $vgpr3
; %bb.131:
	s_and_not1_saveexec_b32 s2, s2
; %bb.132:
	v_and_b32_e32 v4, 0xffff, v3
	v_or_b32_e32 v5, 0x10000, v3
	s_delay_alu instid0(VALU_DEP_2) | instskip(NEXT) | instid1(VALU_DEP_2)
	v_cmp_eq_u32_e32 vcc_lo, 0, v4
	v_cndmask_b32_e32 v4, v5, v3, vcc_lo
; %bb.133:
	s_or_b32 exec_lo, exec_lo, s2
	s_delay_alu instid0(VALU_DEP_1)
	v_lshrrev_b32_e32 v3, 16, v4
	v_mov_b32_e32 v4, 0
.LBB21_134:
	s_or_b32 exec_lo, exec_lo, s1
	v_mov_b32_e32 v5, 0
	v_mov_b32_e32 v6, 0
	s_and_saveexec_b32 s1, s0
	s_cbranch_execz .LBB21_140
; %bb.135:
	v_div_scale_f32 v5, null, v12, v12, v28
	s_delay_alu instid0(VALU_DEP_1) | instskip(SKIP_2) | instid1(VALU_DEP_1)
	v_rcp_f32_e32 v6, v5
	s_waitcnt_depctr 0xfff
	v_fma_f32 v7, -v5, v6, 1.0
	v_fmac_f32_e32 v6, v7, v6
	v_div_scale_f32 v7, vcc_lo, v28, v12, v28
	s_delay_alu instid0(VALU_DEP_1) | instskip(NEXT) | instid1(VALU_DEP_1)
	v_mul_f32_e32 v8, v7, v6
	v_fma_f32 v29, -v5, v8, v7
	s_delay_alu instid0(VALU_DEP_1) | instskip(NEXT) | instid1(VALU_DEP_1)
	v_fmac_f32_e32 v8, v29, v6
	v_fma_f32 v5, -v5, v8, v7
	s_delay_alu instid0(VALU_DEP_1) | instskip(NEXT) | instid1(VALU_DEP_1)
	v_div_fmas_f32 v5, v5, v6, v8
	v_div_fixup_f32 v5, v5, v12, v28
	s_delay_alu instid0(VALU_DEP_1) | instskip(NEXT) | instid1(VALU_DEP_1)
	v_and_b32_e32 v6, 0x7f800000, v5
	v_cmp_ne_u32_e32 vcc_lo, 0x7f800000, v6
                                        ; implicit-def: $vgpr6
	s_and_saveexec_b32 s2, vcc_lo
	s_delay_alu instid0(SALU_CYCLE_1)
	s_xor_b32 s2, exec_lo, s2
; %bb.136:
	v_bfe_u32 v6, v5, 16, 1
	s_delay_alu instid0(VALU_DEP_1)
	v_add3_u32 v6, v5, v6, 0x7fff
                                        ; implicit-def: $vgpr5
; %bb.137:
	s_and_not1_saveexec_b32 s2, s2
; %bb.138:
	v_and_b32_e32 v6, 0xffff, v5
	v_or_b32_e32 v7, 0x10000, v5
	s_delay_alu instid0(VALU_DEP_2) | instskip(NEXT) | instid1(VALU_DEP_2)
	v_cmp_eq_u32_e32 vcc_lo, 0, v6
	v_cndmask_b32_e32 v6, v7, v5, vcc_lo
; %bb.139:
	s_or_b32 exec_lo, exec_lo, s2
	s_delay_alu instid0(VALU_DEP_1)
	v_lshrrev_b32_e32 v5, 16, v6
.LBB21_140:
	s_or_b32 exec_lo, exec_lo, s1
	v_mov_b32_e32 v6, 0
	v_mov_b32_e32 v7, 0
	s_and_saveexec_b32 s1, s0
	s_cbranch_execz .LBB21_146
; %bb.141:
	v_div_scale_f32 v6, null, v12, v12, v27
	s_delay_alu instid0(VALU_DEP_1) | instskip(SKIP_2) | instid1(VALU_DEP_1)
	v_rcp_f32_e32 v7, v6
	s_waitcnt_depctr 0xfff
	v_fma_f32 v8, -v6, v7, 1.0
	v_fmac_f32_e32 v7, v8, v7
	v_div_scale_f32 v8, vcc_lo, v27, v12, v27
	s_delay_alu instid0(VALU_DEP_1) | instskip(NEXT) | instid1(VALU_DEP_1)
	v_mul_f32_e32 v28, v8, v7
	v_fma_f32 v29, -v6, v28, v8
	s_delay_alu instid0(VALU_DEP_1) | instskip(NEXT) | instid1(VALU_DEP_1)
	v_fmac_f32_e32 v28, v29, v7
	v_fma_f32 v6, -v6, v28, v8
	s_delay_alu instid0(VALU_DEP_1) | instskip(NEXT) | instid1(VALU_DEP_1)
	v_div_fmas_f32 v6, v6, v7, v28
	v_div_fixup_f32 v6, v6, v12, v27
	s_delay_alu instid0(VALU_DEP_1) | instskip(NEXT) | instid1(VALU_DEP_1)
	v_and_b32_e32 v7, 0x7f800000, v6
	v_cmp_ne_u32_e32 vcc_lo, 0x7f800000, v7
                                        ; implicit-def: $vgpr7
	s_and_saveexec_b32 s2, vcc_lo
	s_delay_alu instid0(SALU_CYCLE_1)
	s_xor_b32 s2, exec_lo, s2
; %bb.142:
	v_bfe_u32 v7, v6, 16, 1
	s_delay_alu instid0(VALU_DEP_1)
	v_add3_u32 v7, v6, v7, 0x7fff
                                        ; implicit-def: $vgpr6
; %bb.143:
	s_and_not1_saveexec_b32 s2, s2
; %bb.144:
	v_and_b32_e32 v7, 0xffff, v6
	v_or_b32_e32 v8, 0x10000, v6
	s_delay_alu instid0(VALU_DEP_2) | instskip(NEXT) | instid1(VALU_DEP_2)
	v_cmp_eq_u32_e32 vcc_lo, 0, v7
	v_cndmask_b32_e32 v7, v8, v6, vcc_lo
; %bb.145:
	s_or_b32 exec_lo, exec_lo, s2
	s_delay_alu instid0(VALU_DEP_1)
	v_lshrrev_b32_e32 v6, 16, v7
.LBB21_146:
	s_or_b32 exec_lo, exec_lo, s1
	v_mov_b32_e32 v7, 0
	v_mov_b32_e32 v8, 0
	s_and_saveexec_b32 s1, s0
	s_cbranch_execz .LBB21_152
; %bb.147:
	v_div_scale_f32 v7, null, v12, v12, v26
	s_delay_alu instid0(VALU_DEP_1) | instskip(SKIP_2) | instid1(VALU_DEP_1)
	v_rcp_f32_e32 v8, v7
	s_waitcnt_depctr 0xfff
	v_fma_f32 v27, -v7, v8, 1.0
	v_fmac_f32_e32 v8, v27, v8
	v_div_scale_f32 v27, vcc_lo, v26, v12, v26
	s_delay_alu instid0(VALU_DEP_1) | instskip(NEXT) | instid1(VALU_DEP_1)
	v_mul_f32_e32 v28, v27, v8
	v_fma_f32 v29, -v7, v28, v27
	s_delay_alu instid0(VALU_DEP_1) | instskip(NEXT) | instid1(VALU_DEP_1)
	v_fmac_f32_e32 v28, v29, v8
	v_fma_f32 v7, -v7, v28, v27
	s_delay_alu instid0(VALU_DEP_1) | instskip(NEXT) | instid1(VALU_DEP_1)
	v_div_fmas_f32 v7, v7, v8, v28
	v_div_fixup_f32 v7, v7, v12, v26
	s_delay_alu instid0(VALU_DEP_1) | instskip(NEXT) | instid1(VALU_DEP_1)
	v_and_b32_e32 v8, 0x7f800000, v7
	v_cmp_ne_u32_e32 vcc_lo, 0x7f800000, v8
                                        ; implicit-def: $vgpr8
	s_and_saveexec_b32 s2, vcc_lo
	s_delay_alu instid0(SALU_CYCLE_1)
	s_xor_b32 s2, exec_lo, s2
; %bb.148:
	v_bfe_u32 v8, v7, 16, 1
	s_delay_alu instid0(VALU_DEP_1)
	v_add3_u32 v8, v7, v8, 0x7fff
                                        ; implicit-def: $vgpr7
; %bb.149:
	s_and_not1_saveexec_b32 s2, s2
; %bb.150:
	v_and_b32_e32 v8, 0xffff, v7
	v_or_b32_e32 v26, 0x10000, v7
	s_delay_alu instid0(VALU_DEP_2) | instskip(NEXT) | instid1(VALU_DEP_2)
	v_cmp_eq_u32_e32 vcc_lo, 0, v8
	v_cndmask_b32_e32 v8, v26, v7, vcc_lo
; %bb.151:
	s_or_b32 exec_lo, exec_lo, s2
	s_delay_alu instid0(VALU_DEP_1)
	v_lshrrev_b32_e32 v7, 16, v8
.LBB21_152:
	s_or_b32 exec_lo, exec_lo, s1
	s_delay_alu instid0(VALU_DEP_1) | instskip(SKIP_1) | instid1(VALU_DEP_2)
	v_lshlrev_b32_e32 v7, 16, v7
	v_lshlrev_b32_e32 v5, 16, v5
	v_or_b32_e32 v6, v7, v6
	v_add_nc_u32_e32 v7, 0x200, v0
	s_delay_alu instid0(VALU_DEP_3) | instskip(NEXT) | instid1(VALU_DEP_3)
	v_or_b32_e32 v3, v5, v3
	v_or_b32_e32 v4, v6, v4
	s_delay_alu instid0(VALU_DEP_3)
	v_cmp_gt_u32_e32 vcc_lo, s6, v7
	global_store_b64 v[1:2], v[3:4], off offset:768
	s_and_b32 exec_lo, exec_lo, vcc_lo
	s_cbranch_execz .LBB21_253
; %bb.153:
	v_mov_b32_e32 v3, 0
	v_mov_b32_e32 v4, 0
	s_and_saveexec_b32 s1, s0
	s_cbranch_execz .LBB21_159
; %bb.154:
	v_div_scale_f32 v3, null, v12, v12, v25
	s_delay_alu instid0(VALU_DEP_1) | instskip(SKIP_2) | instid1(VALU_DEP_1)
	v_rcp_f32_e32 v4, v3
	s_waitcnt_depctr 0xfff
	v_fma_f32 v5, -v3, v4, 1.0
	v_fmac_f32_e32 v4, v5, v4
	v_div_scale_f32 v5, vcc_lo, v25, v12, v25
	s_delay_alu instid0(VALU_DEP_1) | instskip(NEXT) | instid1(VALU_DEP_1)
	v_mul_f32_e32 v6, v5, v4
	v_fma_f32 v7, -v3, v6, v5
	s_delay_alu instid0(VALU_DEP_1) | instskip(NEXT) | instid1(VALU_DEP_1)
	v_fmac_f32_e32 v6, v7, v4
	v_fma_f32 v3, -v3, v6, v5
	s_delay_alu instid0(VALU_DEP_1) | instskip(NEXT) | instid1(VALU_DEP_1)
	v_div_fmas_f32 v3, v3, v4, v6
	v_div_fixup_f32 v3, v3, v12, v25
	s_delay_alu instid0(VALU_DEP_1) | instskip(NEXT) | instid1(VALU_DEP_1)
	v_and_b32_e32 v4, 0x7f800000, v3
	v_cmp_ne_u32_e32 vcc_lo, 0x7f800000, v4
                                        ; implicit-def: $vgpr4
	s_and_saveexec_b32 s2, vcc_lo
	s_delay_alu instid0(SALU_CYCLE_1)
	s_xor_b32 s2, exec_lo, s2
; %bb.155:
	v_bfe_u32 v4, v3, 16, 1
	s_delay_alu instid0(VALU_DEP_1)
	v_add3_u32 v4, v3, v4, 0x7fff
                                        ; implicit-def: $vgpr3
; %bb.156:
	s_and_not1_saveexec_b32 s2, s2
; %bb.157:
	v_and_b32_e32 v4, 0xffff, v3
	v_or_b32_e32 v5, 0x10000, v3
	s_delay_alu instid0(VALU_DEP_2) | instskip(NEXT) | instid1(VALU_DEP_2)
	v_cmp_eq_u32_e32 vcc_lo, 0, v4
	v_cndmask_b32_e32 v4, v5, v3, vcc_lo
; %bb.158:
	s_or_b32 exec_lo, exec_lo, s2
	s_delay_alu instid0(VALU_DEP_1)
	v_lshrrev_b32_e32 v3, 16, v4
	v_mov_b32_e32 v4, 0
.LBB21_159:
	s_or_b32 exec_lo, exec_lo, s1
	v_mov_b32_e32 v5, 0
	v_mov_b32_e32 v6, 0
	s_and_saveexec_b32 s1, s0
	s_cbranch_execz .LBB21_165
; %bb.160:
	v_div_scale_f32 v5, null, v12, v12, v24
	s_delay_alu instid0(VALU_DEP_1) | instskip(SKIP_2) | instid1(VALU_DEP_1)
	v_rcp_f32_e32 v6, v5
	s_waitcnt_depctr 0xfff
	v_fma_f32 v7, -v5, v6, 1.0
	v_fmac_f32_e32 v6, v7, v6
	v_div_scale_f32 v7, vcc_lo, v24, v12, v24
	s_delay_alu instid0(VALU_DEP_1) | instskip(NEXT) | instid1(VALU_DEP_1)
	v_mul_f32_e32 v8, v7, v6
	v_fma_f32 v25, -v5, v8, v7
	s_delay_alu instid0(VALU_DEP_1) | instskip(NEXT) | instid1(VALU_DEP_1)
	v_fmac_f32_e32 v8, v25, v6
	v_fma_f32 v5, -v5, v8, v7
	s_delay_alu instid0(VALU_DEP_1) | instskip(NEXT) | instid1(VALU_DEP_1)
	v_div_fmas_f32 v5, v5, v6, v8
	v_div_fixup_f32 v5, v5, v12, v24
	s_delay_alu instid0(VALU_DEP_1) | instskip(NEXT) | instid1(VALU_DEP_1)
	v_and_b32_e32 v6, 0x7f800000, v5
	v_cmp_ne_u32_e32 vcc_lo, 0x7f800000, v6
                                        ; implicit-def: $vgpr6
	s_and_saveexec_b32 s2, vcc_lo
	s_delay_alu instid0(SALU_CYCLE_1)
	s_xor_b32 s2, exec_lo, s2
; %bb.161:
	v_bfe_u32 v6, v5, 16, 1
	s_delay_alu instid0(VALU_DEP_1)
	v_add3_u32 v6, v5, v6, 0x7fff
                                        ; implicit-def: $vgpr5
; %bb.162:
	s_and_not1_saveexec_b32 s2, s2
; %bb.163:
	v_and_b32_e32 v6, 0xffff, v5
	v_or_b32_e32 v7, 0x10000, v5
	s_delay_alu instid0(VALU_DEP_2) | instskip(NEXT) | instid1(VALU_DEP_2)
	v_cmp_eq_u32_e32 vcc_lo, 0, v6
	v_cndmask_b32_e32 v6, v7, v5, vcc_lo
; %bb.164:
	s_or_b32 exec_lo, exec_lo, s2
	s_delay_alu instid0(VALU_DEP_1)
	v_lshrrev_b32_e32 v5, 16, v6
.LBB21_165:
	s_or_b32 exec_lo, exec_lo, s1
	v_mov_b32_e32 v6, 0
	v_mov_b32_e32 v7, 0
	s_and_saveexec_b32 s1, s0
	s_cbranch_execz .LBB21_171
; %bb.166:
	v_div_scale_f32 v6, null, v12, v12, v23
	s_delay_alu instid0(VALU_DEP_1) | instskip(SKIP_2) | instid1(VALU_DEP_1)
	v_rcp_f32_e32 v7, v6
	s_waitcnt_depctr 0xfff
	v_fma_f32 v8, -v6, v7, 1.0
	v_fmac_f32_e32 v7, v8, v7
	v_div_scale_f32 v8, vcc_lo, v23, v12, v23
	s_delay_alu instid0(VALU_DEP_1) | instskip(NEXT) | instid1(VALU_DEP_1)
	v_mul_f32_e32 v24, v8, v7
	v_fma_f32 v25, -v6, v24, v8
	s_delay_alu instid0(VALU_DEP_1) | instskip(NEXT) | instid1(VALU_DEP_1)
	v_fmac_f32_e32 v24, v25, v7
	v_fma_f32 v6, -v6, v24, v8
	s_delay_alu instid0(VALU_DEP_1) | instskip(NEXT) | instid1(VALU_DEP_1)
	v_div_fmas_f32 v6, v6, v7, v24
	v_div_fixup_f32 v6, v6, v12, v23
	s_delay_alu instid0(VALU_DEP_1) | instskip(NEXT) | instid1(VALU_DEP_1)
	v_and_b32_e32 v7, 0x7f800000, v6
	v_cmp_ne_u32_e32 vcc_lo, 0x7f800000, v7
                                        ; implicit-def: $vgpr7
	s_and_saveexec_b32 s2, vcc_lo
	s_delay_alu instid0(SALU_CYCLE_1)
	s_xor_b32 s2, exec_lo, s2
; %bb.167:
	v_bfe_u32 v7, v6, 16, 1
	s_delay_alu instid0(VALU_DEP_1)
	v_add3_u32 v7, v6, v7, 0x7fff
                                        ; implicit-def: $vgpr6
; %bb.168:
	s_and_not1_saveexec_b32 s2, s2
; %bb.169:
	v_and_b32_e32 v7, 0xffff, v6
	v_or_b32_e32 v8, 0x10000, v6
	s_delay_alu instid0(VALU_DEP_2) | instskip(NEXT) | instid1(VALU_DEP_2)
	v_cmp_eq_u32_e32 vcc_lo, 0, v7
	v_cndmask_b32_e32 v7, v8, v6, vcc_lo
; %bb.170:
	s_or_b32 exec_lo, exec_lo, s2
	s_delay_alu instid0(VALU_DEP_1)
	v_lshrrev_b32_e32 v6, 16, v7
.LBB21_171:
	s_or_b32 exec_lo, exec_lo, s1
	v_mov_b32_e32 v7, 0
	v_mov_b32_e32 v8, 0
	s_and_saveexec_b32 s1, s0
	s_cbranch_execz .LBB21_177
; %bb.172:
	v_div_scale_f32 v7, null, v12, v12, v22
	s_delay_alu instid0(VALU_DEP_1) | instskip(SKIP_2) | instid1(VALU_DEP_1)
	v_rcp_f32_e32 v8, v7
	s_waitcnt_depctr 0xfff
	v_fma_f32 v23, -v7, v8, 1.0
	v_fmac_f32_e32 v8, v23, v8
	v_div_scale_f32 v23, vcc_lo, v22, v12, v22
	s_delay_alu instid0(VALU_DEP_1) | instskip(NEXT) | instid1(VALU_DEP_1)
	v_mul_f32_e32 v24, v23, v8
	v_fma_f32 v25, -v7, v24, v23
	s_delay_alu instid0(VALU_DEP_1) | instskip(NEXT) | instid1(VALU_DEP_1)
	v_fmac_f32_e32 v24, v25, v8
	v_fma_f32 v7, -v7, v24, v23
	s_delay_alu instid0(VALU_DEP_1) | instskip(NEXT) | instid1(VALU_DEP_1)
	v_div_fmas_f32 v7, v7, v8, v24
	v_div_fixup_f32 v7, v7, v12, v22
	s_delay_alu instid0(VALU_DEP_1) | instskip(NEXT) | instid1(VALU_DEP_1)
	v_and_b32_e32 v8, 0x7f800000, v7
	v_cmp_ne_u32_e32 vcc_lo, 0x7f800000, v8
                                        ; implicit-def: $vgpr8
	s_and_saveexec_b32 s2, vcc_lo
	s_delay_alu instid0(SALU_CYCLE_1)
	s_xor_b32 s2, exec_lo, s2
; %bb.173:
	v_bfe_u32 v8, v7, 16, 1
	s_delay_alu instid0(VALU_DEP_1)
	v_add3_u32 v8, v7, v8, 0x7fff
                                        ; implicit-def: $vgpr7
; %bb.174:
	s_and_not1_saveexec_b32 s2, s2
; %bb.175:
	v_and_b32_e32 v8, 0xffff, v7
	v_or_b32_e32 v22, 0x10000, v7
	s_delay_alu instid0(VALU_DEP_2) | instskip(NEXT) | instid1(VALU_DEP_2)
	v_cmp_eq_u32_e32 vcc_lo, 0, v8
	v_cndmask_b32_e32 v8, v22, v7, vcc_lo
; %bb.176:
	s_or_b32 exec_lo, exec_lo, s2
	s_delay_alu instid0(VALU_DEP_1)
	v_lshrrev_b32_e32 v7, 16, v8
.LBB21_177:
	s_or_b32 exec_lo, exec_lo, s1
	s_delay_alu instid0(VALU_DEP_1) | instskip(SKIP_1) | instid1(VALU_DEP_2)
	v_lshlrev_b32_e32 v7, 16, v7
	v_lshlrev_b32_e32 v5, 16, v5
	v_or_b32_e32 v6, v7, v6
	v_add_nc_u32_e32 v7, 0x280, v0
	s_delay_alu instid0(VALU_DEP_3) | instskip(NEXT) | instid1(VALU_DEP_3)
	v_or_b32_e32 v3, v5, v3
	v_or_b32_e32 v4, v6, v4
	s_delay_alu instid0(VALU_DEP_3)
	v_cmp_gt_u32_e32 vcc_lo, s6, v7
	global_store_b64 v[1:2], v[3:4], off offset:1024
	s_and_b32 exec_lo, exec_lo, vcc_lo
	s_cbranch_execz .LBB21_253
; %bb.178:
	v_mov_b32_e32 v3, 0
	v_mov_b32_e32 v4, 0
	s_and_saveexec_b32 s1, s0
	s_cbranch_execz .LBB21_184
; %bb.179:
	v_div_scale_f32 v3, null, v12, v12, v21
	s_delay_alu instid0(VALU_DEP_1) | instskip(SKIP_2) | instid1(VALU_DEP_1)
	v_rcp_f32_e32 v4, v3
	s_waitcnt_depctr 0xfff
	v_fma_f32 v5, -v3, v4, 1.0
	v_fmac_f32_e32 v4, v5, v4
	v_div_scale_f32 v5, vcc_lo, v21, v12, v21
	s_delay_alu instid0(VALU_DEP_1) | instskip(NEXT) | instid1(VALU_DEP_1)
	v_mul_f32_e32 v6, v5, v4
	v_fma_f32 v7, -v3, v6, v5
	s_delay_alu instid0(VALU_DEP_1) | instskip(NEXT) | instid1(VALU_DEP_1)
	v_fmac_f32_e32 v6, v7, v4
	v_fma_f32 v3, -v3, v6, v5
	s_delay_alu instid0(VALU_DEP_1) | instskip(NEXT) | instid1(VALU_DEP_1)
	v_div_fmas_f32 v3, v3, v4, v6
	v_div_fixup_f32 v3, v3, v12, v21
	s_delay_alu instid0(VALU_DEP_1) | instskip(NEXT) | instid1(VALU_DEP_1)
	v_and_b32_e32 v4, 0x7f800000, v3
	v_cmp_ne_u32_e32 vcc_lo, 0x7f800000, v4
                                        ; implicit-def: $vgpr4
	s_and_saveexec_b32 s2, vcc_lo
	s_delay_alu instid0(SALU_CYCLE_1)
	s_xor_b32 s2, exec_lo, s2
; %bb.180:
	v_bfe_u32 v4, v3, 16, 1
	s_delay_alu instid0(VALU_DEP_1)
	v_add3_u32 v4, v3, v4, 0x7fff
                                        ; implicit-def: $vgpr3
; %bb.181:
	s_and_not1_saveexec_b32 s2, s2
; %bb.182:
	v_and_b32_e32 v4, 0xffff, v3
	v_or_b32_e32 v5, 0x10000, v3
	s_delay_alu instid0(VALU_DEP_2) | instskip(NEXT) | instid1(VALU_DEP_2)
	v_cmp_eq_u32_e32 vcc_lo, 0, v4
	v_cndmask_b32_e32 v4, v5, v3, vcc_lo
; %bb.183:
	s_or_b32 exec_lo, exec_lo, s2
	s_delay_alu instid0(VALU_DEP_1)
	v_lshrrev_b32_e32 v3, 16, v4
	v_mov_b32_e32 v4, 0
.LBB21_184:
	s_or_b32 exec_lo, exec_lo, s1
	v_mov_b32_e32 v5, 0
	v_mov_b32_e32 v6, 0
	s_and_saveexec_b32 s1, s0
	s_cbranch_execz .LBB21_190
; %bb.185:
	v_div_scale_f32 v5, null, v12, v12, v20
	s_delay_alu instid0(VALU_DEP_1) | instskip(SKIP_2) | instid1(VALU_DEP_1)
	v_rcp_f32_e32 v6, v5
	s_waitcnt_depctr 0xfff
	v_fma_f32 v7, -v5, v6, 1.0
	v_fmac_f32_e32 v6, v7, v6
	v_div_scale_f32 v7, vcc_lo, v20, v12, v20
	s_delay_alu instid0(VALU_DEP_1) | instskip(NEXT) | instid1(VALU_DEP_1)
	v_mul_f32_e32 v8, v7, v6
	v_fma_f32 v21, -v5, v8, v7
	s_delay_alu instid0(VALU_DEP_1) | instskip(NEXT) | instid1(VALU_DEP_1)
	v_fmac_f32_e32 v8, v21, v6
	v_fma_f32 v5, -v5, v8, v7
	s_delay_alu instid0(VALU_DEP_1) | instskip(NEXT) | instid1(VALU_DEP_1)
	v_div_fmas_f32 v5, v5, v6, v8
	v_div_fixup_f32 v5, v5, v12, v20
	s_delay_alu instid0(VALU_DEP_1) | instskip(NEXT) | instid1(VALU_DEP_1)
	v_and_b32_e32 v6, 0x7f800000, v5
	v_cmp_ne_u32_e32 vcc_lo, 0x7f800000, v6
                                        ; implicit-def: $vgpr6
	s_and_saveexec_b32 s2, vcc_lo
	s_delay_alu instid0(SALU_CYCLE_1)
	s_xor_b32 s2, exec_lo, s2
; %bb.186:
	v_bfe_u32 v6, v5, 16, 1
	s_delay_alu instid0(VALU_DEP_1)
	v_add3_u32 v6, v5, v6, 0x7fff
                                        ; implicit-def: $vgpr5
; %bb.187:
	s_and_not1_saveexec_b32 s2, s2
; %bb.188:
	v_and_b32_e32 v6, 0xffff, v5
	v_or_b32_e32 v7, 0x10000, v5
	s_delay_alu instid0(VALU_DEP_2) | instskip(NEXT) | instid1(VALU_DEP_2)
	v_cmp_eq_u32_e32 vcc_lo, 0, v6
	v_cndmask_b32_e32 v6, v7, v5, vcc_lo
; %bb.189:
	s_or_b32 exec_lo, exec_lo, s2
	s_delay_alu instid0(VALU_DEP_1)
	v_lshrrev_b32_e32 v5, 16, v6
.LBB21_190:
	s_or_b32 exec_lo, exec_lo, s1
	v_mov_b32_e32 v6, 0
	v_mov_b32_e32 v7, 0
	s_and_saveexec_b32 s1, s0
	s_cbranch_execz .LBB21_196
; %bb.191:
	v_div_scale_f32 v6, null, v12, v12, v19
	s_delay_alu instid0(VALU_DEP_1) | instskip(SKIP_2) | instid1(VALU_DEP_1)
	v_rcp_f32_e32 v7, v6
	s_waitcnt_depctr 0xfff
	v_fma_f32 v8, -v6, v7, 1.0
	v_fmac_f32_e32 v7, v8, v7
	v_div_scale_f32 v8, vcc_lo, v19, v12, v19
	s_delay_alu instid0(VALU_DEP_1) | instskip(NEXT) | instid1(VALU_DEP_1)
	v_mul_f32_e32 v20, v8, v7
	v_fma_f32 v21, -v6, v20, v8
	s_delay_alu instid0(VALU_DEP_1) | instskip(NEXT) | instid1(VALU_DEP_1)
	v_fmac_f32_e32 v20, v21, v7
	v_fma_f32 v6, -v6, v20, v8
	s_delay_alu instid0(VALU_DEP_1) | instskip(NEXT) | instid1(VALU_DEP_1)
	v_div_fmas_f32 v6, v6, v7, v20
	v_div_fixup_f32 v6, v6, v12, v19
	s_delay_alu instid0(VALU_DEP_1) | instskip(NEXT) | instid1(VALU_DEP_1)
	v_and_b32_e32 v7, 0x7f800000, v6
	v_cmp_ne_u32_e32 vcc_lo, 0x7f800000, v7
                                        ; implicit-def: $vgpr7
	s_and_saveexec_b32 s2, vcc_lo
	s_delay_alu instid0(SALU_CYCLE_1)
	s_xor_b32 s2, exec_lo, s2
; %bb.192:
	v_bfe_u32 v7, v6, 16, 1
	s_delay_alu instid0(VALU_DEP_1)
	v_add3_u32 v7, v6, v7, 0x7fff
                                        ; implicit-def: $vgpr6
; %bb.193:
	s_and_not1_saveexec_b32 s2, s2
; %bb.194:
	v_and_b32_e32 v7, 0xffff, v6
	v_or_b32_e32 v8, 0x10000, v6
	s_delay_alu instid0(VALU_DEP_2) | instskip(NEXT) | instid1(VALU_DEP_2)
	v_cmp_eq_u32_e32 vcc_lo, 0, v7
	v_cndmask_b32_e32 v7, v8, v6, vcc_lo
; %bb.195:
	s_or_b32 exec_lo, exec_lo, s2
	s_delay_alu instid0(VALU_DEP_1)
	v_lshrrev_b32_e32 v6, 16, v7
.LBB21_196:
	s_or_b32 exec_lo, exec_lo, s1
	v_mov_b32_e32 v7, 0
	v_mov_b32_e32 v8, 0
	s_and_saveexec_b32 s1, s0
	s_cbranch_execz .LBB21_202
; %bb.197:
	v_div_scale_f32 v7, null, v12, v12, v18
	s_delay_alu instid0(VALU_DEP_1) | instskip(SKIP_2) | instid1(VALU_DEP_1)
	v_rcp_f32_e32 v8, v7
	s_waitcnt_depctr 0xfff
	v_fma_f32 v19, -v7, v8, 1.0
	v_fmac_f32_e32 v8, v19, v8
	v_div_scale_f32 v19, vcc_lo, v18, v12, v18
	s_delay_alu instid0(VALU_DEP_1) | instskip(NEXT) | instid1(VALU_DEP_1)
	v_mul_f32_e32 v20, v19, v8
	v_fma_f32 v21, -v7, v20, v19
	s_delay_alu instid0(VALU_DEP_1) | instskip(NEXT) | instid1(VALU_DEP_1)
	v_fmac_f32_e32 v20, v21, v8
	v_fma_f32 v7, -v7, v20, v19
	s_delay_alu instid0(VALU_DEP_1) | instskip(NEXT) | instid1(VALU_DEP_1)
	v_div_fmas_f32 v7, v7, v8, v20
	v_div_fixup_f32 v7, v7, v12, v18
	s_delay_alu instid0(VALU_DEP_1) | instskip(NEXT) | instid1(VALU_DEP_1)
	v_and_b32_e32 v8, 0x7f800000, v7
	v_cmp_ne_u32_e32 vcc_lo, 0x7f800000, v8
                                        ; implicit-def: $vgpr8
	s_and_saveexec_b32 s2, vcc_lo
	s_delay_alu instid0(SALU_CYCLE_1)
	s_xor_b32 s2, exec_lo, s2
; %bb.198:
	v_bfe_u32 v8, v7, 16, 1
	s_delay_alu instid0(VALU_DEP_1)
	v_add3_u32 v8, v7, v8, 0x7fff
                                        ; implicit-def: $vgpr7
; %bb.199:
	s_and_not1_saveexec_b32 s2, s2
; %bb.200:
	v_and_b32_e32 v8, 0xffff, v7
	v_or_b32_e32 v18, 0x10000, v7
	s_delay_alu instid0(VALU_DEP_2) | instskip(NEXT) | instid1(VALU_DEP_2)
	v_cmp_eq_u32_e32 vcc_lo, 0, v8
	v_cndmask_b32_e32 v8, v18, v7, vcc_lo
; %bb.201:
	s_or_b32 exec_lo, exec_lo, s2
	s_delay_alu instid0(VALU_DEP_1)
	v_lshrrev_b32_e32 v7, 16, v8
.LBB21_202:
	s_or_b32 exec_lo, exec_lo, s1
	s_delay_alu instid0(VALU_DEP_1) | instskip(SKIP_1) | instid1(VALU_DEP_2)
	v_lshlrev_b32_e32 v7, 16, v7
	v_lshlrev_b32_e32 v5, 16, v5
	v_or_b32_e32 v6, v7, v6
	v_add_nc_u32_e32 v7, 0x300, v0
	s_delay_alu instid0(VALU_DEP_3) | instskip(NEXT) | instid1(VALU_DEP_3)
	v_or_b32_e32 v3, v5, v3
	v_or_b32_e32 v4, v6, v4
	s_delay_alu instid0(VALU_DEP_3)
	v_cmp_gt_u32_e32 vcc_lo, s6, v7
	global_store_b64 v[1:2], v[3:4], off offset:1280
	s_and_b32 exec_lo, exec_lo, vcc_lo
	s_cbranch_execz .LBB21_253
; %bb.203:
	v_mov_b32_e32 v3, 0
	v_mov_b32_e32 v4, 0
	s_and_saveexec_b32 s1, s0
	s_cbranch_execz .LBB21_209
; %bb.204:
	v_div_scale_f32 v3, null, v12, v12, v17
	s_delay_alu instid0(VALU_DEP_1) | instskip(SKIP_2) | instid1(VALU_DEP_1)
	v_rcp_f32_e32 v4, v3
	s_waitcnt_depctr 0xfff
	v_fma_f32 v5, -v3, v4, 1.0
	v_fmac_f32_e32 v4, v5, v4
	v_div_scale_f32 v5, vcc_lo, v17, v12, v17
	s_delay_alu instid0(VALU_DEP_1) | instskip(NEXT) | instid1(VALU_DEP_1)
	v_mul_f32_e32 v6, v5, v4
	v_fma_f32 v7, -v3, v6, v5
	s_delay_alu instid0(VALU_DEP_1) | instskip(NEXT) | instid1(VALU_DEP_1)
	v_fmac_f32_e32 v6, v7, v4
	v_fma_f32 v3, -v3, v6, v5
	s_delay_alu instid0(VALU_DEP_1) | instskip(NEXT) | instid1(VALU_DEP_1)
	v_div_fmas_f32 v3, v3, v4, v6
	v_div_fixup_f32 v3, v3, v12, v17
	s_delay_alu instid0(VALU_DEP_1) | instskip(NEXT) | instid1(VALU_DEP_1)
	v_and_b32_e32 v4, 0x7f800000, v3
	v_cmp_ne_u32_e32 vcc_lo, 0x7f800000, v4
                                        ; implicit-def: $vgpr4
	s_and_saveexec_b32 s2, vcc_lo
	s_delay_alu instid0(SALU_CYCLE_1)
	s_xor_b32 s2, exec_lo, s2
; %bb.205:
	v_bfe_u32 v4, v3, 16, 1
	s_delay_alu instid0(VALU_DEP_1)
	v_add3_u32 v4, v3, v4, 0x7fff
                                        ; implicit-def: $vgpr3
; %bb.206:
	s_and_not1_saveexec_b32 s2, s2
; %bb.207:
	v_and_b32_e32 v4, 0xffff, v3
	v_or_b32_e32 v5, 0x10000, v3
	s_delay_alu instid0(VALU_DEP_2) | instskip(NEXT) | instid1(VALU_DEP_2)
	v_cmp_eq_u32_e32 vcc_lo, 0, v4
	v_cndmask_b32_e32 v4, v5, v3, vcc_lo
; %bb.208:
	s_or_b32 exec_lo, exec_lo, s2
	s_delay_alu instid0(VALU_DEP_1)
	v_lshrrev_b32_e32 v3, 16, v4
	v_mov_b32_e32 v4, 0
.LBB21_209:
	s_or_b32 exec_lo, exec_lo, s1
	v_mov_b32_e32 v5, 0
	v_mov_b32_e32 v6, 0
	s_and_saveexec_b32 s1, s0
	s_cbranch_execz .LBB21_215
; %bb.210:
	v_div_scale_f32 v5, null, v12, v12, v16
	s_delay_alu instid0(VALU_DEP_1) | instskip(SKIP_2) | instid1(VALU_DEP_1)
	v_rcp_f32_e32 v6, v5
	s_waitcnt_depctr 0xfff
	v_fma_f32 v7, -v5, v6, 1.0
	v_fmac_f32_e32 v6, v7, v6
	v_div_scale_f32 v7, vcc_lo, v16, v12, v16
	s_delay_alu instid0(VALU_DEP_1) | instskip(NEXT) | instid1(VALU_DEP_1)
	v_mul_f32_e32 v8, v7, v6
	v_fma_f32 v17, -v5, v8, v7
	s_delay_alu instid0(VALU_DEP_1) | instskip(NEXT) | instid1(VALU_DEP_1)
	v_fmac_f32_e32 v8, v17, v6
	v_fma_f32 v5, -v5, v8, v7
	s_delay_alu instid0(VALU_DEP_1) | instskip(NEXT) | instid1(VALU_DEP_1)
	v_div_fmas_f32 v5, v5, v6, v8
	v_div_fixup_f32 v5, v5, v12, v16
	s_delay_alu instid0(VALU_DEP_1) | instskip(NEXT) | instid1(VALU_DEP_1)
	v_and_b32_e32 v6, 0x7f800000, v5
	v_cmp_ne_u32_e32 vcc_lo, 0x7f800000, v6
                                        ; implicit-def: $vgpr6
	s_and_saveexec_b32 s2, vcc_lo
	s_delay_alu instid0(SALU_CYCLE_1)
	s_xor_b32 s2, exec_lo, s2
; %bb.211:
	v_bfe_u32 v6, v5, 16, 1
	s_delay_alu instid0(VALU_DEP_1)
	v_add3_u32 v6, v5, v6, 0x7fff
                                        ; implicit-def: $vgpr5
; %bb.212:
	s_and_not1_saveexec_b32 s2, s2
; %bb.213:
	v_and_b32_e32 v6, 0xffff, v5
	v_or_b32_e32 v7, 0x10000, v5
	s_delay_alu instid0(VALU_DEP_2) | instskip(NEXT) | instid1(VALU_DEP_2)
	v_cmp_eq_u32_e32 vcc_lo, 0, v6
	v_cndmask_b32_e32 v6, v7, v5, vcc_lo
; %bb.214:
	s_or_b32 exec_lo, exec_lo, s2
	s_delay_alu instid0(VALU_DEP_1)
	v_lshrrev_b32_e32 v5, 16, v6
.LBB21_215:
	s_or_b32 exec_lo, exec_lo, s1
	v_mov_b32_e32 v6, 0
	v_mov_b32_e32 v7, 0
	s_and_saveexec_b32 s1, s0
	s_cbranch_execz .LBB21_221
; %bb.216:
	v_div_scale_f32 v6, null, v12, v12, v9
	s_delay_alu instid0(VALU_DEP_1) | instskip(SKIP_2) | instid1(VALU_DEP_1)
	v_rcp_f32_e32 v7, v6
	s_waitcnt_depctr 0xfff
	v_fma_f32 v8, -v6, v7, 1.0
	v_fmac_f32_e32 v7, v8, v7
	v_div_scale_f32 v8, vcc_lo, v9, v12, v9
	s_delay_alu instid0(VALU_DEP_1) | instskip(NEXT) | instid1(VALU_DEP_1)
	v_mul_f32_e32 v16, v8, v7
	v_fma_f32 v17, -v6, v16, v8
	s_delay_alu instid0(VALU_DEP_1) | instskip(NEXT) | instid1(VALU_DEP_1)
	v_fmac_f32_e32 v16, v17, v7
	v_fma_f32 v6, -v6, v16, v8
	s_delay_alu instid0(VALU_DEP_1) | instskip(NEXT) | instid1(VALU_DEP_1)
	v_div_fmas_f32 v6, v6, v7, v16
	v_div_fixup_f32 v6, v6, v12, v9
	s_delay_alu instid0(VALU_DEP_1) | instskip(NEXT) | instid1(VALU_DEP_1)
	v_and_b32_e32 v7, 0x7f800000, v6
	v_cmp_ne_u32_e32 vcc_lo, 0x7f800000, v7
                                        ; implicit-def: $vgpr7
	s_and_saveexec_b32 s2, vcc_lo
	s_delay_alu instid0(SALU_CYCLE_1)
	s_xor_b32 s2, exec_lo, s2
; %bb.217:
	v_bfe_u32 v7, v6, 16, 1
	s_delay_alu instid0(VALU_DEP_1)
	v_add3_u32 v7, v6, v7, 0x7fff
                                        ; implicit-def: $vgpr6
; %bb.218:
	s_and_not1_saveexec_b32 s2, s2
; %bb.219:
	v_and_b32_e32 v7, 0xffff, v6
	v_or_b32_e32 v8, 0x10000, v6
	s_delay_alu instid0(VALU_DEP_2) | instskip(NEXT) | instid1(VALU_DEP_2)
	v_cmp_eq_u32_e32 vcc_lo, 0, v7
	v_cndmask_b32_e32 v7, v8, v6, vcc_lo
; %bb.220:
	s_or_b32 exec_lo, exec_lo, s2
	s_delay_alu instid0(VALU_DEP_1)
	v_lshrrev_b32_e32 v7, 16, v7
	v_mov_b32_e32 v6, 0
.LBB21_221:
	s_or_b32 exec_lo, exec_lo, s1
	v_mov_b32_e32 v8, 0
	v_mov_b32_e32 v9, 0
	s_and_saveexec_b32 s1, s0
	s_cbranch_execz .LBB21_227
; %bb.222:
	v_div_scale_f32 v8, null, v12, v12, v15
	s_delay_alu instid0(VALU_DEP_1) | instskip(SKIP_2) | instid1(VALU_DEP_1)
	v_rcp_f32_e32 v9, v8
	s_waitcnt_depctr 0xfff
	v_fma_f32 v16, -v8, v9, 1.0
	v_fmac_f32_e32 v9, v16, v9
	v_div_scale_f32 v16, vcc_lo, v15, v12, v15
	s_delay_alu instid0(VALU_DEP_1) | instskip(NEXT) | instid1(VALU_DEP_1)
	v_mul_f32_e32 v17, v16, v9
	v_fma_f32 v18, -v8, v17, v16
	s_delay_alu instid0(VALU_DEP_1) | instskip(NEXT) | instid1(VALU_DEP_1)
	v_fmac_f32_e32 v17, v18, v9
	v_fma_f32 v8, -v8, v17, v16
	s_delay_alu instid0(VALU_DEP_1) | instskip(NEXT) | instid1(VALU_DEP_1)
	v_div_fmas_f32 v8, v8, v9, v17
	v_div_fixup_f32 v8, v8, v12, v15
	s_delay_alu instid0(VALU_DEP_1) | instskip(NEXT) | instid1(VALU_DEP_1)
	v_and_b32_e32 v9, 0x7f800000, v8
	v_cmp_ne_u32_e32 vcc_lo, 0x7f800000, v9
                                        ; implicit-def: $vgpr9
	s_and_saveexec_b32 s2, vcc_lo
	s_delay_alu instid0(SALU_CYCLE_1)
	s_xor_b32 s2, exec_lo, s2
; %bb.223:
	v_bfe_u32 v9, v8, 16, 1
	s_delay_alu instid0(VALU_DEP_1)
	v_add3_u32 v9, v8, v9, 0x7fff
                                        ; implicit-def: $vgpr8
; %bb.224:
	s_and_not1_saveexec_b32 s2, s2
; %bb.225:
	v_and_b32_e32 v9, 0xffff, v8
	v_or_b32_e32 v15, 0x10000, v8
	s_delay_alu instid0(VALU_DEP_2) | instskip(NEXT) | instid1(VALU_DEP_2)
	v_cmp_eq_u32_e32 vcc_lo, 0, v9
	v_cndmask_b32_e32 v9, v15, v8, vcc_lo
; %bb.226:
	s_or_b32 exec_lo, exec_lo, s2
	s_delay_alu instid0(VALU_DEP_1)
	v_dual_mov_b32 v8, 0 :: v_dual_and_b32 v9, 0xffff0000, v9
.LBB21_227:
	s_or_b32 exec_lo, exec_lo, s1
	s_delay_alu instid0(VALU_DEP_1) | instskip(NEXT) | instid1(VALU_DEP_2)
	v_or_b32_e32 v6, v8, v6
	v_or_b32_e32 v7, v9, v7
	v_add_nc_u32_e32 v0, 0x380, v0
	s_delay_alu instid0(VALU_DEP_3) | instskip(NEXT) | instid1(VALU_DEP_3)
	v_lshl_or_b32 v5, v5, 16, v6
	v_or_b32_e32 v4, v7, v4
	s_delay_alu instid0(VALU_DEP_3) | instskip(NEXT) | instid1(VALU_DEP_3)
	v_cmp_gt_u32_e32 vcc_lo, s6, v0
	v_or_b32_e32 v3, v5, v3
	global_store_b64 v[1:2], v[3:4], off offset:1536
	s_and_b32 exec_lo, exec_lo, vcc_lo
	s_cbranch_execz .LBB21_253
; %bb.228:
	v_mov_b32_e32 v3, 0
	v_mov_b32_e32 v4, 0
	s_and_saveexec_b32 s1, s0
	s_cbranch_execz .LBB21_234
; %bb.229:
	v_div_scale_f32 v0, null, v12, v12, v14
	s_delay_alu instid0(VALU_DEP_1) | instskip(SKIP_2) | instid1(VALU_DEP_1)
	v_rcp_f32_e32 v3, v0
	s_waitcnt_depctr 0xfff
	v_fma_f32 v4, -v0, v3, 1.0
	v_fmac_f32_e32 v3, v4, v3
	v_div_scale_f32 v4, vcc_lo, v14, v12, v14
	s_delay_alu instid0(VALU_DEP_1) | instskip(NEXT) | instid1(VALU_DEP_1)
	v_mul_f32_e32 v5, v4, v3
	v_fma_f32 v6, -v0, v5, v4
	s_delay_alu instid0(VALU_DEP_1) | instskip(NEXT) | instid1(VALU_DEP_1)
	v_fmac_f32_e32 v5, v6, v3
	v_fma_f32 v0, -v0, v5, v4
	s_delay_alu instid0(VALU_DEP_1) | instskip(NEXT) | instid1(VALU_DEP_1)
	v_div_fmas_f32 v0, v0, v3, v5
	v_div_fixup_f32 v0, v0, v12, v14
	s_delay_alu instid0(VALU_DEP_1) | instskip(NEXT) | instid1(VALU_DEP_1)
	v_and_b32_e32 v3, 0x7f800000, v0
	v_cmp_ne_u32_e32 vcc_lo, 0x7f800000, v3
                                        ; implicit-def: $vgpr3
	s_and_saveexec_b32 s2, vcc_lo
	s_delay_alu instid0(SALU_CYCLE_1)
	s_xor_b32 s2, exec_lo, s2
; %bb.230:
	v_bfe_u32 v3, v0, 16, 1
	s_delay_alu instid0(VALU_DEP_1)
	v_add3_u32 v3, v0, v3, 0x7fff
                                        ; implicit-def: $vgpr0
; %bb.231:
	s_and_not1_saveexec_b32 s2, s2
; %bb.232:
	v_and_b32_e32 v3, 0xffff, v0
	v_or_b32_e32 v4, 0x10000, v0
	s_delay_alu instid0(VALU_DEP_2) | instskip(NEXT) | instid1(VALU_DEP_2)
	v_cmp_eq_u32_e32 vcc_lo, 0, v3
	v_cndmask_b32_e32 v3, v4, v0, vcc_lo
; %bb.233:
	s_or_b32 exec_lo, exec_lo, s2
	s_delay_alu instid0(VALU_DEP_1)
	v_lshrrev_b32_e32 v3, 16, v3
	v_mov_b32_e32 v4, 0
.LBB21_234:
	s_or_b32 exec_lo, exec_lo, s1
	v_mov_b32_e32 v5, 0
	v_mov_b32_e32 v6, 0
	s_and_saveexec_b32 s1, s0
	s_cbranch_execz .LBB21_240
; %bb.235:
	v_div_scale_f32 v0, null, v12, v12, v13
	s_delay_alu instid0(VALU_DEP_1) | instskip(SKIP_2) | instid1(VALU_DEP_1)
	v_rcp_f32_e32 v5, v0
	s_waitcnt_depctr 0xfff
	v_fma_f32 v6, -v0, v5, 1.0
	v_fmac_f32_e32 v5, v6, v5
	v_div_scale_f32 v6, vcc_lo, v13, v12, v13
	s_delay_alu instid0(VALU_DEP_1) | instskip(NEXT) | instid1(VALU_DEP_1)
	v_mul_f32_e32 v7, v6, v5
	v_fma_f32 v8, -v0, v7, v6
	s_delay_alu instid0(VALU_DEP_1) | instskip(NEXT) | instid1(VALU_DEP_1)
	v_fmac_f32_e32 v7, v8, v5
	v_fma_f32 v0, -v0, v7, v6
	s_delay_alu instid0(VALU_DEP_1) | instskip(NEXT) | instid1(VALU_DEP_1)
	v_div_fmas_f32 v0, v0, v5, v7
	v_div_fixup_f32 v0, v0, v12, v13
	s_delay_alu instid0(VALU_DEP_1) | instskip(NEXT) | instid1(VALU_DEP_1)
	v_and_b32_e32 v5, 0x7f800000, v0
	v_cmp_ne_u32_e32 vcc_lo, 0x7f800000, v5
                                        ; implicit-def: $vgpr5
	s_and_saveexec_b32 s2, vcc_lo
	s_delay_alu instid0(SALU_CYCLE_1)
	s_xor_b32 s2, exec_lo, s2
; %bb.236:
	v_bfe_u32 v5, v0, 16, 1
	s_delay_alu instid0(VALU_DEP_1)
	v_add3_u32 v5, v0, v5, 0x7fff
                                        ; implicit-def: $vgpr0
; %bb.237:
	s_and_not1_saveexec_b32 s2, s2
; %bb.238:
	v_and_b32_e32 v5, 0xffff, v0
	v_or_b32_e32 v6, 0x10000, v0
	s_delay_alu instid0(VALU_DEP_2) | instskip(NEXT) | instid1(VALU_DEP_2)
	v_cmp_eq_u32_e32 vcc_lo, 0, v5
	v_cndmask_b32_e32 v5, v6, v0, vcc_lo
; %bb.239:
	s_or_b32 exec_lo, exec_lo, s2
	s_delay_alu instid0(VALU_DEP_1)
	v_dual_mov_b32 v6, 0 :: v_dual_and_b32 v5, 0xffff0000, v5
.LBB21_240:
	s_or_b32 exec_lo, exec_lo, s1
	v_mov_b32_e32 v7, 0
	v_mov_b32_e32 v8, 0
	s_and_saveexec_b32 s1, s0
	s_cbranch_execz .LBB21_246
; %bb.241:
	v_div_scale_f32 v0, null, v12, v12, v10
	s_delay_alu instid0(VALU_DEP_1) | instskip(SKIP_2) | instid1(VALU_DEP_1)
	v_rcp_f32_e32 v7, v0
	s_waitcnt_depctr 0xfff
	v_fma_f32 v8, -v0, v7, 1.0
	v_fmac_f32_e32 v7, v8, v7
	v_div_scale_f32 v8, vcc_lo, v10, v12, v10
	s_delay_alu instid0(VALU_DEP_1) | instskip(NEXT) | instid1(VALU_DEP_1)
	v_mul_f32_e32 v9, v8, v7
	v_fma_f32 v13, -v0, v9, v8
	s_delay_alu instid0(VALU_DEP_1) | instskip(NEXT) | instid1(VALU_DEP_1)
	v_fmac_f32_e32 v9, v13, v7
	v_fma_f32 v0, -v0, v9, v8
	s_delay_alu instid0(VALU_DEP_1) | instskip(NEXT) | instid1(VALU_DEP_1)
	v_div_fmas_f32 v0, v0, v7, v9
	v_div_fixup_f32 v0, v0, v12, v10
	s_delay_alu instid0(VALU_DEP_1) | instskip(NEXT) | instid1(VALU_DEP_1)
	v_and_b32_e32 v7, 0x7f800000, v0
	v_cmp_ne_u32_e32 vcc_lo, 0x7f800000, v7
                                        ; implicit-def: $vgpr7
	s_and_saveexec_b32 s2, vcc_lo
	s_delay_alu instid0(SALU_CYCLE_1)
	s_xor_b32 s2, exec_lo, s2
; %bb.242:
	v_bfe_u32 v7, v0, 16, 1
	s_delay_alu instid0(VALU_DEP_1)
	v_add3_u32 v7, v0, v7, 0x7fff
                                        ; implicit-def: $vgpr0
; %bb.243:
	s_and_not1_saveexec_b32 s2, s2
; %bb.244:
	v_and_b32_e32 v7, 0xffff, v0
	v_or_b32_e32 v8, 0x10000, v0
	s_delay_alu instid0(VALU_DEP_2) | instskip(NEXT) | instid1(VALU_DEP_2)
	v_cmp_eq_u32_e32 vcc_lo, 0, v7
	v_cndmask_b32_e32 v7, v8, v0, vcc_lo
; %bb.245:
	s_or_b32 exec_lo, exec_lo, s2
	s_delay_alu instid0(VALU_DEP_1)
	v_lshrrev_b32_e32 v8, 16, v7
	v_mov_b32_e32 v7, 0
.LBB21_246:
	s_or_b32 exec_lo, exec_lo, s1
	v_mov_b32_e32 v9, 0
	v_mov_b32_e32 v10, 0
	s_and_saveexec_b32 s1, s0
	s_cbranch_execz .LBB21_252
; %bb.247:
	v_div_scale_f32 v0, null, v12, v12, v11
	s_delay_alu instid0(VALU_DEP_1) | instskip(SKIP_2) | instid1(VALU_DEP_1)
	v_rcp_f32_e32 v9, v0
	s_waitcnt_depctr 0xfff
	v_fma_f32 v10, -v0, v9, 1.0
	v_fmac_f32_e32 v9, v10, v9
	v_div_scale_f32 v10, vcc_lo, v11, v12, v11
	s_delay_alu instid0(VALU_DEP_1) | instskip(NEXT) | instid1(VALU_DEP_1)
	v_mul_f32_e32 v13, v10, v9
	v_fma_f32 v14, -v0, v13, v10
	s_delay_alu instid0(VALU_DEP_1) | instskip(NEXT) | instid1(VALU_DEP_1)
	v_fmac_f32_e32 v13, v14, v9
	v_fma_f32 v0, -v0, v13, v10
	s_delay_alu instid0(VALU_DEP_1) | instskip(NEXT) | instid1(VALU_DEP_1)
	v_div_fmas_f32 v0, v0, v9, v13
	v_div_fixup_f32 v0, v0, v12, v11
	s_delay_alu instid0(VALU_DEP_1) | instskip(NEXT) | instid1(VALU_DEP_1)
	v_and_b32_e32 v9, 0x7f800000, v0
	v_cmp_ne_u32_e32 vcc_lo, 0x7f800000, v9
                                        ; implicit-def: $vgpr9
	s_and_saveexec_b32 s0, vcc_lo
	s_delay_alu instid0(SALU_CYCLE_1)
	s_xor_b32 s0, exec_lo, s0
; %bb.248:
	v_bfe_u32 v9, v0, 16, 1
	s_delay_alu instid0(VALU_DEP_1)
	v_add3_u32 v9, v0, v9, 0x7fff
                                        ; implicit-def: $vgpr0
; %bb.249:
	s_and_not1_saveexec_b32 s0, s0
; %bb.250:
	v_and_b32_e32 v9, 0xffff, v0
	v_or_b32_e32 v10, 0x10000, v0
	s_delay_alu instid0(VALU_DEP_2) | instskip(NEXT) | instid1(VALU_DEP_2)
	v_cmp_eq_u32_e32 vcc_lo, 0, v9
	v_cndmask_b32_e32 v9, v10, v0, vcc_lo
; %bb.251:
	s_or_b32 exec_lo, exec_lo, s0
	s_delay_alu instid0(VALU_DEP_1)
	v_dual_mov_b32 v9, 0 :: v_dual_and_b32 v10, 0xffff0000, v9
.LBB21_252:
	s_or_b32 exec_lo, exec_lo, s1
	s_delay_alu instid0(VALU_DEP_1) | instskip(NEXT) | instid1(VALU_DEP_2)
	v_or_b32_e32 v0, v10, v8
	v_or_b32_e32 v7, v9, v7
	s_delay_alu instid0(VALU_DEP_2) | instskip(NEXT) | instid1(VALU_DEP_2)
	v_or3_b32 v4, v0, v6, v4
	v_or3_b32 v3, v7, v5, v3
	global_store_b64 v[1:2], v[3:4], off offset:1792
.LBB21_253:
	s_nop 0
	s_sendmsg sendmsg(MSG_DEALLOC_VGPRS)
	s_endpgm
	.section	.rodata,"a",@progbits
	.p2align	6, 0x0
	.amdhsa_kernel _Z34scaled_masked_softmax_warp_forwardI14__hip_bfloat16S0_fLi10EEvPT0_PKT_PKhT1_iii
		.amdhsa_group_segment_fixed_size 0
		.amdhsa_private_segment_fixed_size 0
		.amdhsa_kernarg_size 296
		.amdhsa_user_sgpr_count 13
		.amdhsa_user_sgpr_dispatch_ptr 0
		.amdhsa_user_sgpr_queue_ptr 0
		.amdhsa_user_sgpr_kernarg_segment_ptr 1
		.amdhsa_user_sgpr_dispatch_id 0
		.amdhsa_user_sgpr_private_segment_size 0
		.amdhsa_wavefront_size32 1
		.amdhsa_uses_dynamic_stack 0
		.amdhsa_enable_private_segment 0
		.amdhsa_system_sgpr_workgroup_id_x 1
		.amdhsa_system_sgpr_workgroup_id_y 1
		.amdhsa_system_sgpr_workgroup_id_z 1
		.amdhsa_system_sgpr_workgroup_info 0
		.amdhsa_system_vgpr_workitem_id 1
		.amdhsa_next_free_vgpr 93
		.amdhsa_next_free_sgpr 16
		.amdhsa_reserve_vcc 1
		.amdhsa_float_round_mode_32 0
		.amdhsa_float_round_mode_16_64 0
		.amdhsa_float_denorm_mode_32 3
		.amdhsa_float_denorm_mode_16_64 3
		.amdhsa_dx10_clamp 1
		.amdhsa_ieee_mode 1
		.amdhsa_fp16_overflow 0
		.amdhsa_workgroup_processor_mode 1
		.amdhsa_memory_ordered 1
		.amdhsa_forward_progress 0
		.amdhsa_shared_vgpr_count 0
		.amdhsa_exception_fp_ieee_invalid_op 0
		.amdhsa_exception_fp_denorm_src 0
		.amdhsa_exception_fp_ieee_div_zero 0
		.amdhsa_exception_fp_ieee_overflow 0
		.amdhsa_exception_fp_ieee_underflow 0
		.amdhsa_exception_fp_ieee_inexact 0
		.amdhsa_exception_int_div_zero 0
	.end_amdhsa_kernel
	.section	.text._Z34scaled_masked_softmax_warp_forwardI14__hip_bfloat16S0_fLi10EEvPT0_PKT_PKhT1_iii,"axG",@progbits,_Z34scaled_masked_softmax_warp_forwardI14__hip_bfloat16S0_fLi10EEvPT0_PKT_PKhT1_iii,comdat
.Lfunc_end21:
	.size	_Z34scaled_masked_softmax_warp_forwardI14__hip_bfloat16S0_fLi10EEvPT0_PKT_PKhT1_iii, .Lfunc_end21-_Z34scaled_masked_softmax_warp_forwardI14__hip_bfloat16S0_fLi10EEvPT0_PKT_PKhT1_iii
                                        ; -- End function
	.section	.AMDGPU.csdata,"",@progbits
; Kernel info:
; codeLenInByte = 14432
; NumSgprs: 18
; NumVgprs: 93
; ScratchSize: 0
; MemoryBound: 0
; FloatMode: 240
; IeeeMode: 1
; LDSByteSize: 0 bytes/workgroup (compile time only)
; SGPRBlocks: 2
; VGPRBlocks: 11
; NumSGPRsForWavesPerEU: 18
; NumVGPRsForWavesPerEU: 93
; Occupancy: 16
; WaveLimiterHint : 0
; COMPUTE_PGM_RSRC2:SCRATCH_EN: 0
; COMPUTE_PGM_RSRC2:USER_SGPR: 13
; COMPUTE_PGM_RSRC2:TRAP_HANDLER: 0
; COMPUTE_PGM_RSRC2:TGID_X_EN: 1
; COMPUTE_PGM_RSRC2:TGID_Y_EN: 1
; COMPUTE_PGM_RSRC2:TGID_Z_EN: 1
; COMPUTE_PGM_RSRC2:TIDIG_COMP_CNT: 1
	.text
	.p2alignl 7, 3214868480
	.fill 96, 4, 3214868480
	.type	__hip_cuid_1554be2ebe120876,@object ; @__hip_cuid_1554be2ebe120876
	.section	.bss,"aw",@nobits
	.globl	__hip_cuid_1554be2ebe120876
__hip_cuid_1554be2ebe120876:
	.byte	0                               ; 0x0
	.size	__hip_cuid_1554be2ebe120876, 1

	.ident	"AMD clang version 19.0.0git (https://github.com/RadeonOpenCompute/llvm-project roc-6.4.0 25133 c7fe45cf4b819c5991fe208aaa96edf142730f1d)"
	.section	".note.GNU-stack","",@progbits
	.addrsig
	.addrsig_sym __hip_cuid_1554be2ebe120876
	.amdgpu_metadata
---
amdhsa.kernels:
  - .args:
      - .address_space:  global
        .offset:         0
        .size:           8
        .value_kind:     global_buffer
      - .address_space:  global
        .offset:         8
        .size:           8
        .value_kind:     global_buffer
      - .address_space:  global
        .offset:         16
        .size:           8
        .value_kind:     global_buffer
      - .offset:         24
        .size:           4
        .value_kind:     by_value
      - .offset:         28
        .size:           4
        .value_kind:     by_value
      - .offset:         32
        .size:           4
        .value_kind:     by_value
      - .offset:         36
        .size:           4
        .value_kind:     by_value
      - .offset:         40
        .size:           4
        .value_kind:     hidden_block_count_x
      - .offset:         44
        .size:           4
        .value_kind:     hidden_block_count_y
      - .offset:         48
        .size:           4
        .value_kind:     hidden_block_count_z
      - .offset:         52
        .size:           2
        .value_kind:     hidden_group_size_x
      - .offset:         54
        .size:           2
        .value_kind:     hidden_group_size_y
      - .offset:         56
        .size:           2
        .value_kind:     hidden_group_size_z
      - .offset:         58
        .size:           2
        .value_kind:     hidden_remainder_x
      - .offset:         60
        .size:           2
        .value_kind:     hidden_remainder_y
      - .offset:         62
        .size:           2
        .value_kind:     hidden_remainder_z
      - .offset:         80
        .size:           8
        .value_kind:     hidden_global_offset_x
      - .offset:         88
        .size:           8
        .value_kind:     hidden_global_offset_y
      - .offset:         96
        .size:           8
        .value_kind:     hidden_global_offset_z
      - .offset:         104
        .size:           2
        .value_kind:     hidden_grid_dims
    .group_segment_fixed_size: 8192
    .kernarg_segment_align: 8
    .kernarg_segment_size: 296
    .language:       OpenCL C
    .language_version:
      - 2
      - 0
    .max_flat_workgroup_size: 1024
    .name:           _Z34scaled_masked_softmax_warp_forwardI6__halfS0_fLi0EEvPT0_PKT_PKhT1_iii
    .private_segment_fixed_size: 0
    .sgpr_count:     20
    .sgpr_spill_count: 0
    .symbol:         _Z34scaled_masked_softmax_warp_forwardI6__halfS0_fLi0EEvPT0_PKT_PKhT1_iii.kd
    .uniform_work_group_size: 1
    .uses_dynamic_stack: false
    .vgpr_count:     15
    .vgpr_spill_count: 0
    .wavefront_size: 32
    .workgroup_processor_mode: 1
  - .args:
      - .address_space:  global
        .offset:         0
        .size:           8
        .value_kind:     global_buffer
      - .address_space:  global
        .offset:         8
        .size:           8
        .value_kind:     global_buffer
      - .address_space:  global
        .offset:         16
        .size:           8
        .value_kind:     global_buffer
      - .offset:         24
        .size:           4
        .value_kind:     by_value
      - .offset:         28
        .size:           4
        .value_kind:     by_value
      - .offset:         32
        .size:           4
        .value_kind:     by_value
      - .offset:         36
        .size:           4
        .value_kind:     by_value
      - .offset:         40
        .size:           4
        .value_kind:     hidden_block_count_x
      - .offset:         44
        .size:           4
        .value_kind:     hidden_block_count_y
      - .offset:         48
        .size:           4
        .value_kind:     hidden_block_count_z
      - .offset:         52
        .size:           2
        .value_kind:     hidden_group_size_x
      - .offset:         54
        .size:           2
        .value_kind:     hidden_group_size_y
      - .offset:         56
        .size:           2
        .value_kind:     hidden_group_size_z
      - .offset:         58
        .size:           2
        .value_kind:     hidden_remainder_x
      - .offset:         60
        .size:           2
        .value_kind:     hidden_remainder_y
      - .offset:         62
        .size:           2
        .value_kind:     hidden_remainder_z
      - .offset:         80
        .size:           8
        .value_kind:     hidden_global_offset_x
      - .offset:         88
        .size:           8
        .value_kind:     hidden_global_offset_y
      - .offset:         96
        .size:           8
        .value_kind:     hidden_global_offset_z
      - .offset:         104
        .size:           2
        .value_kind:     hidden_grid_dims
    .group_segment_fixed_size: 8192
    .kernarg_segment_align: 8
    .kernarg_segment_size: 296
    .language:       OpenCL C
    .language_version:
      - 2
      - 0
    .max_flat_workgroup_size: 1024
    .name:           _Z34scaled_masked_softmax_warp_forwardI6__halfS0_fLi1EEvPT0_PKT_PKhT1_iii
    .private_segment_fixed_size: 0
    .sgpr_count:     20
    .sgpr_spill_count: 0
    .symbol:         _Z34scaled_masked_softmax_warp_forwardI6__halfS0_fLi1EEvPT0_PKT_PKhT1_iii.kd
    .uniform_work_group_size: 1
    .uses_dynamic_stack: false
    .vgpr_count:     15
    .vgpr_spill_count: 0
    .wavefront_size: 32
    .workgroup_processor_mode: 1
  - .args:
      - .address_space:  global
        .offset:         0
        .size:           8
        .value_kind:     global_buffer
      - .address_space:  global
        .offset:         8
        .size:           8
        .value_kind:     global_buffer
      - .address_space:  global
        .offset:         16
        .size:           8
        .value_kind:     global_buffer
      - .offset:         24
        .size:           4
        .value_kind:     by_value
      - .offset:         28
        .size:           4
        .value_kind:     by_value
      - .offset:         32
        .size:           4
        .value_kind:     by_value
      - .offset:         36
        .size:           4
        .value_kind:     by_value
      - .offset:         40
        .size:           4
        .value_kind:     hidden_block_count_x
      - .offset:         44
        .size:           4
        .value_kind:     hidden_block_count_y
      - .offset:         48
        .size:           4
        .value_kind:     hidden_block_count_z
      - .offset:         52
        .size:           2
        .value_kind:     hidden_group_size_x
      - .offset:         54
        .size:           2
        .value_kind:     hidden_group_size_y
      - .offset:         56
        .size:           2
        .value_kind:     hidden_group_size_z
      - .offset:         58
        .size:           2
        .value_kind:     hidden_remainder_x
      - .offset:         60
        .size:           2
        .value_kind:     hidden_remainder_y
      - .offset:         62
        .size:           2
        .value_kind:     hidden_remainder_z
      - .offset:         80
        .size:           8
        .value_kind:     hidden_global_offset_x
      - .offset:         88
        .size:           8
        .value_kind:     hidden_global_offset_y
      - .offset:         96
        .size:           8
        .value_kind:     hidden_global_offset_z
      - .offset:         104
        .size:           2
        .value_kind:     hidden_grid_dims
    .group_segment_fixed_size: 8192
    .kernarg_segment_align: 8
    .kernarg_segment_size: 296
    .language:       OpenCL C
    .language_version:
      - 2
      - 0
    .max_flat_workgroup_size: 1024
    .name:           _Z34scaled_masked_softmax_warp_forwardI6__halfS0_fLi2EEvPT0_PKT_PKhT1_iii
    .private_segment_fixed_size: 0
    .sgpr_count:     20
    .sgpr_spill_count: 0
    .symbol:         _Z34scaled_masked_softmax_warp_forwardI6__halfS0_fLi2EEvPT0_PKT_PKhT1_iii.kd
    .uniform_work_group_size: 1
    .uses_dynamic_stack: false
    .vgpr_count:     16
    .vgpr_spill_count: 0
    .wavefront_size: 32
    .workgroup_processor_mode: 1
  - .args:
      - .address_space:  global
        .offset:         0
        .size:           8
        .value_kind:     global_buffer
      - .address_space:  global
        .offset:         8
        .size:           8
        .value_kind:     global_buffer
      - .address_space:  global
        .offset:         16
        .size:           8
        .value_kind:     global_buffer
      - .offset:         24
        .size:           4
        .value_kind:     by_value
      - .offset:         28
        .size:           4
        .value_kind:     by_value
      - .offset:         32
        .size:           4
        .value_kind:     by_value
      - .offset:         36
        .size:           4
        .value_kind:     by_value
      - .offset:         40
        .size:           4
        .value_kind:     hidden_block_count_x
      - .offset:         44
        .size:           4
        .value_kind:     hidden_block_count_y
      - .offset:         48
        .size:           4
        .value_kind:     hidden_block_count_z
      - .offset:         52
        .size:           2
        .value_kind:     hidden_group_size_x
      - .offset:         54
        .size:           2
        .value_kind:     hidden_group_size_y
      - .offset:         56
        .size:           2
        .value_kind:     hidden_group_size_z
      - .offset:         58
        .size:           2
        .value_kind:     hidden_remainder_x
      - .offset:         60
        .size:           2
        .value_kind:     hidden_remainder_y
      - .offset:         62
        .size:           2
        .value_kind:     hidden_remainder_z
      - .offset:         80
        .size:           8
        .value_kind:     hidden_global_offset_x
      - .offset:         88
        .size:           8
        .value_kind:     hidden_global_offset_y
      - .offset:         96
        .size:           8
        .value_kind:     hidden_global_offset_z
      - .offset:         104
        .size:           2
        .value_kind:     hidden_grid_dims
    .group_segment_fixed_size: 8192
    .kernarg_segment_align: 8
    .kernarg_segment_size: 296
    .language:       OpenCL C
    .language_version:
      - 2
      - 0
    .max_flat_workgroup_size: 1024
    .name:           _Z34scaled_masked_softmax_warp_forwardI6__halfS0_fLi3EEvPT0_PKT_PKhT1_iii
    .private_segment_fixed_size: 0
    .sgpr_count:     20
    .sgpr_spill_count: 0
    .symbol:         _Z34scaled_masked_softmax_warp_forwardI6__halfS0_fLi3EEvPT0_PKT_PKhT1_iii.kd
    .uniform_work_group_size: 1
    .uses_dynamic_stack: false
    .vgpr_count:     17
    .vgpr_spill_count: 0
    .wavefront_size: 32
    .workgroup_processor_mode: 1
  - .args:
      - .address_space:  global
        .offset:         0
        .size:           8
        .value_kind:     global_buffer
      - .address_space:  global
        .offset:         8
        .size:           8
        .value_kind:     global_buffer
      - .address_space:  global
        .offset:         16
        .size:           8
        .value_kind:     global_buffer
      - .offset:         24
        .size:           4
        .value_kind:     by_value
      - .offset:         28
        .size:           4
        .value_kind:     by_value
      - .offset:         32
        .size:           4
        .value_kind:     by_value
      - .offset:         36
        .size:           4
        .value_kind:     by_value
      - .offset:         40
        .size:           4
        .value_kind:     hidden_block_count_x
      - .offset:         44
        .size:           4
        .value_kind:     hidden_block_count_y
      - .offset:         48
        .size:           4
        .value_kind:     hidden_block_count_z
      - .offset:         52
        .size:           2
        .value_kind:     hidden_group_size_x
      - .offset:         54
        .size:           2
        .value_kind:     hidden_group_size_y
      - .offset:         56
        .size:           2
        .value_kind:     hidden_group_size_z
      - .offset:         58
        .size:           2
        .value_kind:     hidden_remainder_x
      - .offset:         60
        .size:           2
        .value_kind:     hidden_remainder_y
      - .offset:         62
        .size:           2
        .value_kind:     hidden_remainder_z
      - .offset:         80
        .size:           8
        .value_kind:     hidden_global_offset_x
      - .offset:         88
        .size:           8
        .value_kind:     hidden_global_offset_y
      - .offset:         96
        .size:           8
        .value_kind:     hidden_global_offset_z
      - .offset:         104
        .size:           2
        .value_kind:     hidden_grid_dims
    .group_segment_fixed_size: 8192
    .kernarg_segment_align: 8
    .kernarg_segment_size: 296
    .language:       OpenCL C
    .language_version:
      - 2
      - 0
    .max_flat_workgroup_size: 1024
    .name:           _Z34scaled_masked_softmax_warp_forwardI6__halfS0_fLi4EEvPT0_PKT_PKhT1_iii
    .private_segment_fixed_size: 0
    .sgpr_count:     20
    .sgpr_spill_count: 0
    .symbol:         _Z34scaled_masked_softmax_warp_forwardI6__halfS0_fLi4EEvPT0_PKT_PKhT1_iii.kd
    .uniform_work_group_size: 1
    .uses_dynamic_stack: false
    .vgpr_count:     18
    .vgpr_spill_count: 0
    .wavefront_size: 32
    .workgroup_processor_mode: 1
  - .args:
      - .address_space:  global
        .offset:         0
        .size:           8
        .value_kind:     global_buffer
      - .address_space:  global
        .offset:         8
        .size:           8
        .value_kind:     global_buffer
      - .address_space:  global
        .offset:         16
        .size:           8
        .value_kind:     global_buffer
      - .offset:         24
        .size:           4
        .value_kind:     by_value
      - .offset:         28
        .size:           4
        .value_kind:     by_value
      - .offset:         32
        .size:           4
        .value_kind:     by_value
      - .offset:         36
        .size:           4
        .value_kind:     by_value
      - .offset:         40
        .size:           4
        .value_kind:     hidden_block_count_x
      - .offset:         44
        .size:           4
        .value_kind:     hidden_block_count_y
      - .offset:         48
        .size:           4
        .value_kind:     hidden_block_count_z
      - .offset:         52
        .size:           2
        .value_kind:     hidden_group_size_x
      - .offset:         54
        .size:           2
        .value_kind:     hidden_group_size_y
      - .offset:         56
        .size:           2
        .value_kind:     hidden_group_size_z
      - .offset:         58
        .size:           2
        .value_kind:     hidden_remainder_x
      - .offset:         60
        .size:           2
        .value_kind:     hidden_remainder_y
      - .offset:         62
        .size:           2
        .value_kind:     hidden_remainder_z
      - .offset:         80
        .size:           8
        .value_kind:     hidden_global_offset_x
      - .offset:         88
        .size:           8
        .value_kind:     hidden_global_offset_y
      - .offset:         96
        .size:           8
        .value_kind:     hidden_global_offset_z
      - .offset:         104
        .size:           2
        .value_kind:     hidden_grid_dims
    .group_segment_fixed_size: 8192
    .kernarg_segment_align: 8
    .kernarg_segment_size: 296
    .language:       OpenCL C
    .language_version:
      - 2
      - 0
    .max_flat_workgroup_size: 1024
    .name:           _Z34scaled_masked_softmax_warp_forwardI6__halfS0_fLi5EEvPT0_PKT_PKhT1_iii
    .private_segment_fixed_size: 0
    .sgpr_count:     20
    .sgpr_spill_count: 0
    .symbol:         _Z34scaled_masked_softmax_warp_forwardI6__halfS0_fLi5EEvPT0_PKT_PKhT1_iii.kd
    .uniform_work_group_size: 1
    .uses_dynamic_stack: false
    .vgpr_count:     19
    .vgpr_spill_count: 0
    .wavefront_size: 32
    .workgroup_processor_mode: 1
  - .args:
      - .address_space:  global
        .offset:         0
        .size:           8
        .value_kind:     global_buffer
      - .address_space:  global
        .offset:         8
        .size:           8
        .value_kind:     global_buffer
      - .address_space:  global
        .offset:         16
        .size:           8
        .value_kind:     global_buffer
      - .offset:         24
        .size:           4
        .value_kind:     by_value
      - .offset:         28
        .size:           4
        .value_kind:     by_value
      - .offset:         32
        .size:           4
        .value_kind:     by_value
      - .offset:         36
        .size:           4
        .value_kind:     by_value
      - .offset:         40
        .size:           4
        .value_kind:     hidden_block_count_x
      - .offset:         44
        .size:           4
        .value_kind:     hidden_block_count_y
      - .offset:         48
        .size:           4
        .value_kind:     hidden_block_count_z
      - .offset:         52
        .size:           2
        .value_kind:     hidden_group_size_x
      - .offset:         54
        .size:           2
        .value_kind:     hidden_group_size_y
      - .offset:         56
        .size:           2
        .value_kind:     hidden_group_size_z
      - .offset:         58
        .size:           2
        .value_kind:     hidden_remainder_x
      - .offset:         60
        .size:           2
        .value_kind:     hidden_remainder_y
      - .offset:         62
        .size:           2
        .value_kind:     hidden_remainder_z
      - .offset:         80
        .size:           8
        .value_kind:     hidden_global_offset_x
      - .offset:         88
        .size:           8
        .value_kind:     hidden_global_offset_y
      - .offset:         96
        .size:           8
        .value_kind:     hidden_global_offset_z
      - .offset:         104
        .size:           2
        .value_kind:     hidden_grid_dims
    .group_segment_fixed_size: 16384
    .kernarg_segment_align: 8
    .kernarg_segment_size: 296
    .language:       OpenCL C
    .language_version:
      - 2
      - 0
    .max_flat_workgroup_size: 1024
    .name:           _Z34scaled_masked_softmax_warp_forwardI6__halfS0_fLi6EEvPT0_PKT_PKhT1_iii
    .private_segment_fixed_size: 0
    .sgpr_count:     20
    .sgpr_spill_count: 0
    .symbol:         _Z34scaled_masked_softmax_warp_forwardI6__halfS0_fLi6EEvPT0_PKT_PKhT1_iii.kd
    .uniform_work_group_size: 1
    .uses_dynamic_stack: false
    .vgpr_count:     28
    .vgpr_spill_count: 0
    .wavefront_size: 32
    .workgroup_processor_mode: 1
  - .args:
      - .address_space:  global
        .offset:         0
        .size:           8
        .value_kind:     global_buffer
      - .address_space:  global
        .offset:         8
        .size:           8
        .value_kind:     global_buffer
      - .address_space:  global
        .offset:         16
        .size:           8
        .value_kind:     global_buffer
      - .offset:         24
        .size:           4
        .value_kind:     by_value
      - .offset:         28
        .size:           4
        .value_kind:     by_value
      - .offset:         32
        .size:           4
        .value_kind:     by_value
      - .offset:         36
        .size:           4
        .value_kind:     by_value
      - .offset:         40
        .size:           4
        .value_kind:     hidden_block_count_x
      - .offset:         44
        .size:           4
        .value_kind:     hidden_block_count_y
      - .offset:         48
        .size:           4
        .value_kind:     hidden_block_count_z
      - .offset:         52
        .size:           2
        .value_kind:     hidden_group_size_x
      - .offset:         54
        .size:           2
        .value_kind:     hidden_group_size_y
      - .offset:         56
        .size:           2
        .value_kind:     hidden_group_size_z
      - .offset:         58
        .size:           2
        .value_kind:     hidden_remainder_x
      - .offset:         60
        .size:           2
        .value_kind:     hidden_remainder_y
      - .offset:         62
        .size:           2
        .value_kind:     hidden_remainder_z
      - .offset:         80
        .size:           8
        .value_kind:     hidden_global_offset_x
      - .offset:         88
        .size:           8
        .value_kind:     hidden_global_offset_y
      - .offset:         96
        .size:           8
        .value_kind:     hidden_global_offset_z
      - .offset:         104
        .size:           2
        .value_kind:     hidden_grid_dims
    .group_segment_fixed_size: 32768
    .kernarg_segment_align: 8
    .kernarg_segment_size: 296
    .language:       OpenCL C
    .language_version:
      - 2
      - 0
    .max_flat_workgroup_size: 1024
    .name:           _Z34scaled_masked_softmax_warp_forwardI6__halfS0_fLi7EEvPT0_PKT_PKhT1_iii
    .private_segment_fixed_size: 0
    .sgpr_count:     20
    .sgpr_spill_count: 0
    .symbol:         _Z34scaled_masked_softmax_warp_forwardI6__halfS0_fLi7EEvPT0_PKT_PKhT1_iii.kd
    .uniform_work_group_size: 1
    .uses_dynamic_stack: false
    .vgpr_count:     43
    .vgpr_spill_count: 0
    .wavefront_size: 32
    .workgroup_processor_mode: 1
  - .args:
      - .address_space:  global
        .offset:         0
        .size:           8
        .value_kind:     global_buffer
      - .address_space:  global
        .offset:         8
        .size:           8
        .value_kind:     global_buffer
      - .address_space:  global
        .offset:         16
        .size:           8
        .value_kind:     global_buffer
      - .offset:         24
        .size:           4
        .value_kind:     by_value
      - .offset:         28
        .size:           4
        .value_kind:     by_value
      - .offset:         32
        .size:           4
        .value_kind:     by_value
      - .offset:         36
        .size:           4
        .value_kind:     by_value
      - .offset:         40
        .size:           4
        .value_kind:     hidden_block_count_x
      - .offset:         44
        .size:           4
        .value_kind:     hidden_block_count_y
      - .offset:         48
        .size:           4
        .value_kind:     hidden_block_count_z
      - .offset:         52
        .size:           2
        .value_kind:     hidden_group_size_x
      - .offset:         54
        .size:           2
        .value_kind:     hidden_group_size_y
      - .offset:         56
        .size:           2
        .value_kind:     hidden_group_size_z
      - .offset:         58
        .size:           2
        .value_kind:     hidden_remainder_x
      - .offset:         60
        .size:           2
        .value_kind:     hidden_remainder_y
      - .offset:         62
        .size:           2
        .value_kind:     hidden_remainder_z
      - .offset:         80
        .size:           8
        .value_kind:     hidden_global_offset_x
      - .offset:         88
        .size:           8
        .value_kind:     hidden_global_offset_y
      - .offset:         96
        .size:           8
        .value_kind:     hidden_global_offset_z
      - .offset:         104
        .size:           2
        .value_kind:     hidden_grid_dims
    .group_segment_fixed_size: 0
    .kernarg_segment_align: 8
    .kernarg_segment_size: 296
    .language:       OpenCL C
    .language_version:
      - 2
      - 0
    .max_flat_workgroup_size: 1024
    .name:           _Z34scaled_masked_softmax_warp_forwardI6__halfS0_fLi8EEvPT0_PKT_PKhT1_iii
    .private_segment_fixed_size: 0
    .sgpr_count:     18
    .sgpr_spill_count: 0
    .symbol:         _Z34scaled_masked_softmax_warp_forwardI6__halfS0_fLi8EEvPT0_PKT_PKhT1_iii.kd
    .uniform_work_group_size: 1
    .uses_dynamic_stack: false
    .vgpr_count:     41
    .vgpr_spill_count: 0
    .wavefront_size: 32
    .workgroup_processor_mode: 1
  - .args:
      - .address_space:  global
        .offset:         0
        .size:           8
        .value_kind:     global_buffer
      - .address_space:  global
        .offset:         8
        .size:           8
        .value_kind:     global_buffer
      - .address_space:  global
        .offset:         16
        .size:           8
        .value_kind:     global_buffer
      - .offset:         24
        .size:           4
        .value_kind:     by_value
      - .offset:         28
        .size:           4
        .value_kind:     by_value
      - .offset:         32
        .size:           4
        .value_kind:     by_value
      - .offset:         36
        .size:           4
        .value_kind:     by_value
      - .offset:         40
        .size:           4
        .value_kind:     hidden_block_count_x
      - .offset:         44
        .size:           4
        .value_kind:     hidden_block_count_y
      - .offset:         48
        .size:           4
        .value_kind:     hidden_block_count_z
      - .offset:         52
        .size:           2
        .value_kind:     hidden_group_size_x
      - .offset:         54
        .size:           2
        .value_kind:     hidden_group_size_y
      - .offset:         56
        .size:           2
        .value_kind:     hidden_group_size_z
      - .offset:         58
        .size:           2
        .value_kind:     hidden_remainder_x
      - .offset:         60
        .size:           2
        .value_kind:     hidden_remainder_y
      - .offset:         62
        .size:           2
        .value_kind:     hidden_remainder_z
      - .offset:         80
        .size:           8
        .value_kind:     hidden_global_offset_x
      - .offset:         88
        .size:           8
        .value_kind:     hidden_global_offset_y
      - .offset:         96
        .size:           8
        .value_kind:     hidden_global_offset_z
      - .offset:         104
        .size:           2
        .value_kind:     hidden_grid_dims
    .group_segment_fixed_size: 0
    .kernarg_segment_align: 8
    .kernarg_segment_size: 296
    .language:       OpenCL C
    .language_version:
      - 2
      - 0
    .max_flat_workgroup_size: 1024
    .name:           _Z34scaled_masked_softmax_warp_forwardI6__halfS0_fLi9EEvPT0_PKT_PKhT1_iii
    .private_segment_fixed_size: 0
    .sgpr_count:     18
    .sgpr_spill_count: 0
    .symbol:         _Z34scaled_masked_softmax_warp_forwardI6__halfS0_fLi9EEvPT0_PKT_PKhT1_iii.kd
    .uniform_work_group_size: 1
    .uses_dynamic_stack: false
    .vgpr_count:     73
    .vgpr_spill_count: 0
    .wavefront_size: 32
    .workgroup_processor_mode: 1
  - .args:
      - .address_space:  global
        .offset:         0
        .size:           8
        .value_kind:     global_buffer
      - .address_space:  global
        .offset:         8
        .size:           8
        .value_kind:     global_buffer
      - .address_space:  global
        .offset:         16
        .size:           8
        .value_kind:     global_buffer
      - .offset:         24
        .size:           4
        .value_kind:     by_value
      - .offset:         28
        .size:           4
        .value_kind:     by_value
      - .offset:         32
        .size:           4
        .value_kind:     by_value
      - .offset:         36
        .size:           4
        .value_kind:     by_value
      - .offset:         40
        .size:           4
        .value_kind:     hidden_block_count_x
      - .offset:         44
        .size:           4
        .value_kind:     hidden_block_count_y
      - .offset:         48
        .size:           4
        .value_kind:     hidden_block_count_z
      - .offset:         52
        .size:           2
        .value_kind:     hidden_group_size_x
      - .offset:         54
        .size:           2
        .value_kind:     hidden_group_size_y
      - .offset:         56
        .size:           2
        .value_kind:     hidden_group_size_z
      - .offset:         58
        .size:           2
        .value_kind:     hidden_remainder_x
      - .offset:         60
        .size:           2
        .value_kind:     hidden_remainder_y
      - .offset:         62
        .size:           2
        .value_kind:     hidden_remainder_z
      - .offset:         80
        .size:           8
        .value_kind:     hidden_global_offset_x
      - .offset:         88
        .size:           8
        .value_kind:     hidden_global_offset_y
      - .offset:         96
        .size:           8
        .value_kind:     hidden_global_offset_z
      - .offset:         104
        .size:           2
        .value_kind:     hidden_grid_dims
    .group_segment_fixed_size: 0
    .kernarg_segment_align: 8
    .kernarg_segment_size: 296
    .language:       OpenCL C
    .language_version:
      - 2
      - 0
    .max_flat_workgroup_size: 1024
    .name:           _Z34scaled_masked_softmax_warp_forwardI6__halfS0_fLi10EEvPT0_PKT_PKhT1_iii
    .private_segment_fixed_size: 0
    .sgpr_count:     18
    .sgpr_spill_count: 0
    .symbol:         _Z34scaled_masked_softmax_warp_forwardI6__halfS0_fLi10EEvPT0_PKT_PKhT1_iii.kd
    .uniform_work_group_size: 1
    .uses_dynamic_stack: false
    .vgpr_count:     93
    .vgpr_spill_count: 0
    .wavefront_size: 32
    .workgroup_processor_mode: 1
  - .args:
      - .address_space:  global
        .offset:         0
        .size:           8
        .value_kind:     global_buffer
      - .address_space:  global
        .offset:         8
        .size:           8
        .value_kind:     global_buffer
      - .address_space:  global
        .offset:         16
        .size:           8
        .value_kind:     global_buffer
      - .offset:         24
        .size:           4
        .value_kind:     by_value
      - .offset:         28
        .size:           4
        .value_kind:     by_value
      - .offset:         32
        .size:           4
        .value_kind:     by_value
      - .offset:         36
        .size:           4
        .value_kind:     by_value
      - .offset:         40
        .size:           4
        .value_kind:     hidden_block_count_x
      - .offset:         44
        .size:           4
        .value_kind:     hidden_block_count_y
      - .offset:         48
        .size:           4
        .value_kind:     hidden_block_count_z
      - .offset:         52
        .size:           2
        .value_kind:     hidden_group_size_x
      - .offset:         54
        .size:           2
        .value_kind:     hidden_group_size_y
      - .offset:         56
        .size:           2
        .value_kind:     hidden_group_size_z
      - .offset:         58
        .size:           2
        .value_kind:     hidden_remainder_x
      - .offset:         60
        .size:           2
        .value_kind:     hidden_remainder_y
      - .offset:         62
        .size:           2
        .value_kind:     hidden_remainder_z
      - .offset:         80
        .size:           8
        .value_kind:     hidden_global_offset_x
      - .offset:         88
        .size:           8
        .value_kind:     hidden_global_offset_y
      - .offset:         96
        .size:           8
        .value_kind:     hidden_global_offset_z
      - .offset:         104
        .size:           2
        .value_kind:     hidden_grid_dims
    .group_segment_fixed_size: 8192
    .kernarg_segment_align: 8
    .kernarg_segment_size: 296
    .language:       OpenCL C
    .language_version:
      - 2
      - 0
    .max_flat_workgroup_size: 1024
    .name:           _Z34scaled_masked_softmax_warp_forwardI14__hip_bfloat16S0_fLi0EEvPT0_PKT_PKhT1_iii
    .private_segment_fixed_size: 0
    .sgpr_count:     20
    .sgpr_spill_count: 0
    .symbol:         _Z34scaled_masked_softmax_warp_forwardI14__hip_bfloat16S0_fLi0EEvPT0_PKT_PKhT1_iii.kd
    .uniform_work_group_size: 1
    .uses_dynamic_stack: false
    .vgpr_count:     15
    .vgpr_spill_count: 0
    .wavefront_size: 32
    .workgroup_processor_mode: 1
  - .args:
      - .address_space:  global
        .offset:         0
        .size:           8
        .value_kind:     global_buffer
      - .address_space:  global
        .offset:         8
        .size:           8
        .value_kind:     global_buffer
      - .address_space:  global
        .offset:         16
        .size:           8
        .value_kind:     global_buffer
      - .offset:         24
        .size:           4
        .value_kind:     by_value
      - .offset:         28
        .size:           4
        .value_kind:     by_value
      - .offset:         32
        .size:           4
        .value_kind:     by_value
      - .offset:         36
        .size:           4
        .value_kind:     by_value
      - .offset:         40
        .size:           4
        .value_kind:     hidden_block_count_x
      - .offset:         44
        .size:           4
        .value_kind:     hidden_block_count_y
      - .offset:         48
        .size:           4
        .value_kind:     hidden_block_count_z
      - .offset:         52
        .size:           2
        .value_kind:     hidden_group_size_x
      - .offset:         54
        .size:           2
        .value_kind:     hidden_group_size_y
      - .offset:         56
        .size:           2
        .value_kind:     hidden_group_size_z
      - .offset:         58
        .size:           2
        .value_kind:     hidden_remainder_x
      - .offset:         60
        .size:           2
        .value_kind:     hidden_remainder_y
      - .offset:         62
        .size:           2
        .value_kind:     hidden_remainder_z
      - .offset:         80
        .size:           8
        .value_kind:     hidden_global_offset_x
      - .offset:         88
        .size:           8
        .value_kind:     hidden_global_offset_y
      - .offset:         96
        .size:           8
        .value_kind:     hidden_global_offset_z
      - .offset:         104
        .size:           2
        .value_kind:     hidden_grid_dims
    .group_segment_fixed_size: 8192
    .kernarg_segment_align: 8
    .kernarg_segment_size: 296
    .language:       OpenCL C
    .language_version:
      - 2
      - 0
    .max_flat_workgroup_size: 1024
    .name:           _Z34scaled_masked_softmax_warp_forwardI14__hip_bfloat16S0_fLi1EEvPT0_PKT_PKhT1_iii
    .private_segment_fixed_size: 0
    .sgpr_count:     20
    .sgpr_spill_count: 0
    .symbol:         _Z34scaled_masked_softmax_warp_forwardI14__hip_bfloat16S0_fLi1EEvPT0_PKT_PKhT1_iii.kd
    .uniform_work_group_size: 1
    .uses_dynamic_stack: false
    .vgpr_count:     15
    .vgpr_spill_count: 0
    .wavefront_size: 32
    .workgroup_processor_mode: 1
  - .args:
      - .address_space:  global
        .offset:         0
        .size:           8
        .value_kind:     global_buffer
      - .address_space:  global
        .offset:         8
        .size:           8
        .value_kind:     global_buffer
      - .address_space:  global
        .offset:         16
        .size:           8
        .value_kind:     global_buffer
      - .offset:         24
        .size:           4
        .value_kind:     by_value
      - .offset:         28
        .size:           4
        .value_kind:     by_value
      - .offset:         32
        .size:           4
        .value_kind:     by_value
      - .offset:         36
        .size:           4
        .value_kind:     by_value
      - .offset:         40
        .size:           4
        .value_kind:     hidden_block_count_x
      - .offset:         44
        .size:           4
        .value_kind:     hidden_block_count_y
      - .offset:         48
        .size:           4
        .value_kind:     hidden_block_count_z
      - .offset:         52
        .size:           2
        .value_kind:     hidden_group_size_x
      - .offset:         54
        .size:           2
        .value_kind:     hidden_group_size_y
      - .offset:         56
        .size:           2
        .value_kind:     hidden_group_size_z
      - .offset:         58
        .size:           2
        .value_kind:     hidden_remainder_x
      - .offset:         60
        .size:           2
        .value_kind:     hidden_remainder_y
      - .offset:         62
        .size:           2
        .value_kind:     hidden_remainder_z
      - .offset:         80
        .size:           8
        .value_kind:     hidden_global_offset_x
      - .offset:         88
        .size:           8
        .value_kind:     hidden_global_offset_y
      - .offset:         96
        .size:           8
        .value_kind:     hidden_global_offset_z
      - .offset:         104
        .size:           2
        .value_kind:     hidden_grid_dims
    .group_segment_fixed_size: 8192
    .kernarg_segment_align: 8
    .kernarg_segment_size: 296
    .language:       OpenCL C
    .language_version:
      - 2
      - 0
    .max_flat_workgroup_size: 1024
    .name:           _Z34scaled_masked_softmax_warp_forwardI14__hip_bfloat16S0_fLi2EEvPT0_PKT_PKhT1_iii
    .private_segment_fixed_size: 0
    .sgpr_count:     20
    .sgpr_spill_count: 0
    .symbol:         _Z34scaled_masked_softmax_warp_forwardI14__hip_bfloat16S0_fLi2EEvPT0_PKT_PKhT1_iii.kd
    .uniform_work_group_size: 1
    .uses_dynamic_stack: false
    .vgpr_count:     16
    .vgpr_spill_count: 0
    .wavefront_size: 32
    .workgroup_processor_mode: 1
  - .args:
      - .address_space:  global
        .offset:         0
        .size:           8
        .value_kind:     global_buffer
      - .address_space:  global
        .offset:         8
        .size:           8
        .value_kind:     global_buffer
      - .address_space:  global
        .offset:         16
        .size:           8
        .value_kind:     global_buffer
      - .offset:         24
        .size:           4
        .value_kind:     by_value
      - .offset:         28
        .size:           4
        .value_kind:     by_value
      - .offset:         32
        .size:           4
        .value_kind:     by_value
      - .offset:         36
        .size:           4
        .value_kind:     by_value
      - .offset:         40
        .size:           4
        .value_kind:     hidden_block_count_x
      - .offset:         44
        .size:           4
        .value_kind:     hidden_block_count_y
      - .offset:         48
        .size:           4
        .value_kind:     hidden_block_count_z
      - .offset:         52
        .size:           2
        .value_kind:     hidden_group_size_x
      - .offset:         54
        .size:           2
        .value_kind:     hidden_group_size_y
      - .offset:         56
        .size:           2
        .value_kind:     hidden_group_size_z
      - .offset:         58
        .size:           2
        .value_kind:     hidden_remainder_x
      - .offset:         60
        .size:           2
        .value_kind:     hidden_remainder_y
      - .offset:         62
        .size:           2
        .value_kind:     hidden_remainder_z
      - .offset:         80
        .size:           8
        .value_kind:     hidden_global_offset_x
      - .offset:         88
        .size:           8
        .value_kind:     hidden_global_offset_y
      - .offset:         96
        .size:           8
        .value_kind:     hidden_global_offset_z
      - .offset:         104
        .size:           2
        .value_kind:     hidden_grid_dims
    .group_segment_fixed_size: 8192
    .kernarg_segment_align: 8
    .kernarg_segment_size: 296
    .language:       OpenCL C
    .language_version:
      - 2
      - 0
    .max_flat_workgroup_size: 1024
    .name:           _Z34scaled_masked_softmax_warp_forwardI14__hip_bfloat16S0_fLi3EEvPT0_PKT_PKhT1_iii
    .private_segment_fixed_size: 0
    .sgpr_count:     20
    .sgpr_spill_count: 0
    .symbol:         _Z34scaled_masked_softmax_warp_forwardI14__hip_bfloat16S0_fLi3EEvPT0_PKT_PKhT1_iii.kd
    .uniform_work_group_size: 1
    .uses_dynamic_stack: false
    .vgpr_count:     17
    .vgpr_spill_count: 0
    .wavefront_size: 32
    .workgroup_processor_mode: 1
  - .args:
      - .address_space:  global
        .offset:         0
        .size:           8
        .value_kind:     global_buffer
      - .address_space:  global
        .offset:         8
        .size:           8
        .value_kind:     global_buffer
      - .address_space:  global
        .offset:         16
        .size:           8
        .value_kind:     global_buffer
      - .offset:         24
        .size:           4
        .value_kind:     by_value
      - .offset:         28
        .size:           4
        .value_kind:     by_value
      - .offset:         32
        .size:           4
        .value_kind:     by_value
      - .offset:         36
        .size:           4
        .value_kind:     by_value
      - .offset:         40
        .size:           4
        .value_kind:     hidden_block_count_x
      - .offset:         44
        .size:           4
        .value_kind:     hidden_block_count_y
      - .offset:         48
        .size:           4
        .value_kind:     hidden_block_count_z
      - .offset:         52
        .size:           2
        .value_kind:     hidden_group_size_x
      - .offset:         54
        .size:           2
        .value_kind:     hidden_group_size_y
      - .offset:         56
        .size:           2
        .value_kind:     hidden_group_size_z
      - .offset:         58
        .size:           2
        .value_kind:     hidden_remainder_x
      - .offset:         60
        .size:           2
        .value_kind:     hidden_remainder_y
      - .offset:         62
        .size:           2
        .value_kind:     hidden_remainder_z
      - .offset:         80
        .size:           8
        .value_kind:     hidden_global_offset_x
      - .offset:         88
        .size:           8
        .value_kind:     hidden_global_offset_y
      - .offset:         96
        .size:           8
        .value_kind:     hidden_global_offset_z
      - .offset:         104
        .size:           2
        .value_kind:     hidden_grid_dims
    .group_segment_fixed_size: 8192
    .kernarg_segment_align: 8
    .kernarg_segment_size: 296
    .language:       OpenCL C
    .language_version:
      - 2
      - 0
    .max_flat_workgroup_size: 1024
    .name:           _Z34scaled_masked_softmax_warp_forwardI14__hip_bfloat16S0_fLi4EEvPT0_PKT_PKhT1_iii
    .private_segment_fixed_size: 0
    .sgpr_count:     20
    .sgpr_spill_count: 0
    .symbol:         _Z34scaled_masked_softmax_warp_forwardI14__hip_bfloat16S0_fLi4EEvPT0_PKT_PKhT1_iii.kd
    .uniform_work_group_size: 1
    .uses_dynamic_stack: false
    .vgpr_count:     18
    .vgpr_spill_count: 0
    .wavefront_size: 32
    .workgroup_processor_mode: 1
  - .args:
      - .address_space:  global
        .offset:         0
        .size:           8
        .value_kind:     global_buffer
      - .address_space:  global
        .offset:         8
        .size:           8
        .value_kind:     global_buffer
      - .address_space:  global
        .offset:         16
        .size:           8
        .value_kind:     global_buffer
      - .offset:         24
        .size:           4
        .value_kind:     by_value
      - .offset:         28
        .size:           4
        .value_kind:     by_value
      - .offset:         32
        .size:           4
        .value_kind:     by_value
      - .offset:         36
        .size:           4
        .value_kind:     by_value
      - .offset:         40
        .size:           4
        .value_kind:     hidden_block_count_x
      - .offset:         44
        .size:           4
        .value_kind:     hidden_block_count_y
      - .offset:         48
        .size:           4
        .value_kind:     hidden_block_count_z
      - .offset:         52
        .size:           2
        .value_kind:     hidden_group_size_x
      - .offset:         54
        .size:           2
        .value_kind:     hidden_group_size_y
      - .offset:         56
        .size:           2
        .value_kind:     hidden_group_size_z
      - .offset:         58
        .size:           2
        .value_kind:     hidden_remainder_x
      - .offset:         60
        .size:           2
        .value_kind:     hidden_remainder_y
      - .offset:         62
        .size:           2
        .value_kind:     hidden_remainder_z
      - .offset:         80
        .size:           8
        .value_kind:     hidden_global_offset_x
      - .offset:         88
        .size:           8
        .value_kind:     hidden_global_offset_y
      - .offset:         96
        .size:           8
        .value_kind:     hidden_global_offset_z
      - .offset:         104
        .size:           2
        .value_kind:     hidden_grid_dims
    .group_segment_fixed_size: 8192
    .kernarg_segment_align: 8
    .kernarg_segment_size: 296
    .language:       OpenCL C
    .language_version:
      - 2
      - 0
    .max_flat_workgroup_size: 1024
    .name:           _Z34scaled_masked_softmax_warp_forwardI14__hip_bfloat16S0_fLi5EEvPT0_PKT_PKhT1_iii
    .private_segment_fixed_size: 0
    .sgpr_count:     20
    .sgpr_spill_count: 0
    .symbol:         _Z34scaled_masked_softmax_warp_forwardI14__hip_bfloat16S0_fLi5EEvPT0_PKT_PKhT1_iii.kd
    .uniform_work_group_size: 1
    .uses_dynamic_stack: false
    .vgpr_count:     19
    .vgpr_spill_count: 0
    .wavefront_size: 32
    .workgroup_processor_mode: 1
  - .args:
      - .address_space:  global
        .offset:         0
        .size:           8
        .value_kind:     global_buffer
      - .address_space:  global
        .offset:         8
        .size:           8
        .value_kind:     global_buffer
      - .address_space:  global
        .offset:         16
        .size:           8
        .value_kind:     global_buffer
      - .offset:         24
        .size:           4
        .value_kind:     by_value
      - .offset:         28
        .size:           4
        .value_kind:     by_value
      - .offset:         32
        .size:           4
        .value_kind:     by_value
      - .offset:         36
        .size:           4
        .value_kind:     by_value
      - .offset:         40
        .size:           4
        .value_kind:     hidden_block_count_x
      - .offset:         44
        .size:           4
        .value_kind:     hidden_block_count_y
      - .offset:         48
        .size:           4
        .value_kind:     hidden_block_count_z
      - .offset:         52
        .size:           2
        .value_kind:     hidden_group_size_x
      - .offset:         54
        .size:           2
        .value_kind:     hidden_group_size_y
      - .offset:         56
        .size:           2
        .value_kind:     hidden_group_size_z
      - .offset:         58
        .size:           2
        .value_kind:     hidden_remainder_x
      - .offset:         60
        .size:           2
        .value_kind:     hidden_remainder_y
      - .offset:         62
        .size:           2
        .value_kind:     hidden_remainder_z
      - .offset:         80
        .size:           8
        .value_kind:     hidden_global_offset_x
      - .offset:         88
        .size:           8
        .value_kind:     hidden_global_offset_y
      - .offset:         96
        .size:           8
        .value_kind:     hidden_global_offset_z
      - .offset:         104
        .size:           2
        .value_kind:     hidden_grid_dims
    .group_segment_fixed_size: 16384
    .kernarg_segment_align: 8
    .kernarg_segment_size: 296
    .language:       OpenCL C
    .language_version:
      - 2
      - 0
    .max_flat_workgroup_size: 1024
    .name:           _Z34scaled_masked_softmax_warp_forwardI14__hip_bfloat16S0_fLi6EEvPT0_PKT_PKhT1_iii
    .private_segment_fixed_size: 0
    .sgpr_count:     20
    .sgpr_spill_count: 0
    .symbol:         _Z34scaled_masked_softmax_warp_forwardI14__hip_bfloat16S0_fLi6EEvPT0_PKT_PKhT1_iii.kd
    .uniform_work_group_size: 1
    .uses_dynamic_stack: false
    .vgpr_count:     28
    .vgpr_spill_count: 0
    .wavefront_size: 32
    .workgroup_processor_mode: 1
  - .args:
      - .address_space:  global
        .offset:         0
        .size:           8
        .value_kind:     global_buffer
      - .address_space:  global
        .offset:         8
        .size:           8
        .value_kind:     global_buffer
      - .address_space:  global
        .offset:         16
        .size:           8
        .value_kind:     global_buffer
      - .offset:         24
        .size:           4
        .value_kind:     by_value
      - .offset:         28
        .size:           4
        .value_kind:     by_value
      - .offset:         32
        .size:           4
        .value_kind:     by_value
      - .offset:         36
        .size:           4
        .value_kind:     by_value
      - .offset:         40
        .size:           4
        .value_kind:     hidden_block_count_x
      - .offset:         44
        .size:           4
        .value_kind:     hidden_block_count_y
      - .offset:         48
        .size:           4
        .value_kind:     hidden_block_count_z
      - .offset:         52
        .size:           2
        .value_kind:     hidden_group_size_x
      - .offset:         54
        .size:           2
        .value_kind:     hidden_group_size_y
      - .offset:         56
        .size:           2
        .value_kind:     hidden_group_size_z
      - .offset:         58
        .size:           2
        .value_kind:     hidden_remainder_x
      - .offset:         60
        .size:           2
        .value_kind:     hidden_remainder_y
      - .offset:         62
        .size:           2
        .value_kind:     hidden_remainder_z
      - .offset:         80
        .size:           8
        .value_kind:     hidden_global_offset_x
      - .offset:         88
        .size:           8
        .value_kind:     hidden_global_offset_y
      - .offset:         96
        .size:           8
        .value_kind:     hidden_global_offset_z
      - .offset:         104
        .size:           2
        .value_kind:     hidden_grid_dims
    .group_segment_fixed_size: 32768
    .kernarg_segment_align: 8
    .kernarg_segment_size: 296
    .language:       OpenCL C
    .language_version:
      - 2
      - 0
    .max_flat_workgroup_size: 1024
    .name:           _Z34scaled_masked_softmax_warp_forwardI14__hip_bfloat16S0_fLi7EEvPT0_PKT_PKhT1_iii
    .private_segment_fixed_size: 0
    .sgpr_count:     20
    .sgpr_spill_count: 0
    .symbol:         _Z34scaled_masked_softmax_warp_forwardI14__hip_bfloat16S0_fLi7EEvPT0_PKT_PKhT1_iii.kd
    .uniform_work_group_size: 1
    .uses_dynamic_stack: false
    .vgpr_count:     43
    .vgpr_spill_count: 0
    .wavefront_size: 32
    .workgroup_processor_mode: 1
  - .args:
      - .address_space:  global
        .offset:         0
        .size:           8
        .value_kind:     global_buffer
      - .address_space:  global
        .offset:         8
        .size:           8
        .value_kind:     global_buffer
      - .address_space:  global
        .offset:         16
        .size:           8
        .value_kind:     global_buffer
      - .offset:         24
        .size:           4
        .value_kind:     by_value
      - .offset:         28
        .size:           4
        .value_kind:     by_value
      - .offset:         32
        .size:           4
        .value_kind:     by_value
      - .offset:         36
        .size:           4
        .value_kind:     by_value
      - .offset:         40
        .size:           4
        .value_kind:     hidden_block_count_x
      - .offset:         44
        .size:           4
        .value_kind:     hidden_block_count_y
      - .offset:         48
        .size:           4
        .value_kind:     hidden_block_count_z
      - .offset:         52
        .size:           2
        .value_kind:     hidden_group_size_x
      - .offset:         54
        .size:           2
        .value_kind:     hidden_group_size_y
      - .offset:         56
        .size:           2
        .value_kind:     hidden_group_size_z
      - .offset:         58
        .size:           2
        .value_kind:     hidden_remainder_x
      - .offset:         60
        .size:           2
        .value_kind:     hidden_remainder_y
      - .offset:         62
        .size:           2
        .value_kind:     hidden_remainder_z
      - .offset:         80
        .size:           8
        .value_kind:     hidden_global_offset_x
      - .offset:         88
        .size:           8
        .value_kind:     hidden_global_offset_y
      - .offset:         96
        .size:           8
        .value_kind:     hidden_global_offset_z
      - .offset:         104
        .size:           2
        .value_kind:     hidden_grid_dims
    .group_segment_fixed_size: 0
    .kernarg_segment_align: 8
    .kernarg_segment_size: 296
    .language:       OpenCL C
    .language_version:
      - 2
      - 0
    .max_flat_workgroup_size: 1024
    .name:           _Z34scaled_masked_softmax_warp_forwardI14__hip_bfloat16S0_fLi8EEvPT0_PKT_PKhT1_iii
    .private_segment_fixed_size: 0
    .sgpr_count:     18
    .sgpr_spill_count: 0
    .symbol:         _Z34scaled_masked_softmax_warp_forwardI14__hip_bfloat16S0_fLi8EEvPT0_PKT_PKhT1_iii.kd
    .uniform_work_group_size: 1
    .uses_dynamic_stack: false
    .vgpr_count:     41
    .vgpr_spill_count: 0
    .wavefront_size: 32
    .workgroup_processor_mode: 1
  - .args:
      - .address_space:  global
        .offset:         0
        .size:           8
        .value_kind:     global_buffer
      - .address_space:  global
        .offset:         8
        .size:           8
        .value_kind:     global_buffer
      - .address_space:  global
        .offset:         16
        .size:           8
        .value_kind:     global_buffer
      - .offset:         24
        .size:           4
        .value_kind:     by_value
      - .offset:         28
        .size:           4
        .value_kind:     by_value
      - .offset:         32
        .size:           4
        .value_kind:     by_value
      - .offset:         36
        .size:           4
        .value_kind:     by_value
      - .offset:         40
        .size:           4
        .value_kind:     hidden_block_count_x
      - .offset:         44
        .size:           4
        .value_kind:     hidden_block_count_y
      - .offset:         48
        .size:           4
        .value_kind:     hidden_block_count_z
      - .offset:         52
        .size:           2
        .value_kind:     hidden_group_size_x
      - .offset:         54
        .size:           2
        .value_kind:     hidden_group_size_y
      - .offset:         56
        .size:           2
        .value_kind:     hidden_group_size_z
      - .offset:         58
        .size:           2
        .value_kind:     hidden_remainder_x
      - .offset:         60
        .size:           2
        .value_kind:     hidden_remainder_y
      - .offset:         62
        .size:           2
        .value_kind:     hidden_remainder_z
      - .offset:         80
        .size:           8
        .value_kind:     hidden_global_offset_x
      - .offset:         88
        .size:           8
        .value_kind:     hidden_global_offset_y
      - .offset:         96
        .size:           8
        .value_kind:     hidden_global_offset_z
      - .offset:         104
        .size:           2
        .value_kind:     hidden_grid_dims
    .group_segment_fixed_size: 0
    .kernarg_segment_align: 8
    .kernarg_segment_size: 296
    .language:       OpenCL C
    .language_version:
      - 2
      - 0
    .max_flat_workgroup_size: 1024
    .name:           _Z34scaled_masked_softmax_warp_forwardI14__hip_bfloat16S0_fLi9EEvPT0_PKT_PKhT1_iii
    .private_segment_fixed_size: 0
    .sgpr_count:     18
    .sgpr_spill_count: 0
    .symbol:         _Z34scaled_masked_softmax_warp_forwardI14__hip_bfloat16S0_fLi9EEvPT0_PKT_PKhT1_iii.kd
    .uniform_work_group_size: 1
    .uses_dynamic_stack: false
    .vgpr_count:     73
    .vgpr_spill_count: 0
    .wavefront_size: 32
    .workgroup_processor_mode: 1
  - .args:
      - .address_space:  global
        .offset:         0
        .size:           8
        .value_kind:     global_buffer
      - .address_space:  global
        .offset:         8
        .size:           8
        .value_kind:     global_buffer
      - .address_space:  global
        .offset:         16
        .size:           8
        .value_kind:     global_buffer
      - .offset:         24
        .size:           4
        .value_kind:     by_value
      - .offset:         28
        .size:           4
        .value_kind:     by_value
      - .offset:         32
        .size:           4
        .value_kind:     by_value
      - .offset:         36
        .size:           4
        .value_kind:     by_value
      - .offset:         40
        .size:           4
        .value_kind:     hidden_block_count_x
      - .offset:         44
        .size:           4
        .value_kind:     hidden_block_count_y
      - .offset:         48
        .size:           4
        .value_kind:     hidden_block_count_z
      - .offset:         52
        .size:           2
        .value_kind:     hidden_group_size_x
      - .offset:         54
        .size:           2
        .value_kind:     hidden_group_size_y
      - .offset:         56
        .size:           2
        .value_kind:     hidden_group_size_z
      - .offset:         58
        .size:           2
        .value_kind:     hidden_remainder_x
      - .offset:         60
        .size:           2
        .value_kind:     hidden_remainder_y
      - .offset:         62
        .size:           2
        .value_kind:     hidden_remainder_z
      - .offset:         80
        .size:           8
        .value_kind:     hidden_global_offset_x
      - .offset:         88
        .size:           8
        .value_kind:     hidden_global_offset_y
      - .offset:         96
        .size:           8
        .value_kind:     hidden_global_offset_z
      - .offset:         104
        .size:           2
        .value_kind:     hidden_grid_dims
    .group_segment_fixed_size: 0
    .kernarg_segment_align: 8
    .kernarg_segment_size: 296
    .language:       OpenCL C
    .language_version:
      - 2
      - 0
    .max_flat_workgroup_size: 1024
    .name:           _Z34scaled_masked_softmax_warp_forwardI14__hip_bfloat16S0_fLi10EEvPT0_PKT_PKhT1_iii
    .private_segment_fixed_size: 0
    .sgpr_count:     18
    .sgpr_spill_count: 0
    .symbol:         _Z34scaled_masked_softmax_warp_forwardI14__hip_bfloat16S0_fLi10EEvPT0_PKT_PKhT1_iii.kd
    .uniform_work_group_size: 1
    .uses_dynamic_stack: false
    .vgpr_count:     93
    .vgpr_spill_count: 0
    .wavefront_size: 32
    .workgroup_processor_mode: 1
amdhsa.target:   amdgcn-amd-amdhsa--gfx1100
amdhsa.version:
  - 1
  - 2
...

	.end_amdgpu_metadata
